;; amdgpu-corpus repo=ROCm/rocFFT kind=compiled arch=gfx906 opt=O3
	.text
	.amdgcn_target "amdgcn-amd-amdhsa--gfx906"
	.amdhsa_code_object_version 6
	.protected	bluestein_single_back_len3000_dim1_half_op_CI_CI ; -- Begin function bluestein_single_back_len3000_dim1_half_op_CI_CI
	.globl	bluestein_single_back_len3000_dim1_half_op_CI_CI
	.p2align	8
	.type	bluestein_single_back_len3000_dim1_half_op_CI_CI,@function
bluestein_single_back_len3000_dim1_half_op_CI_CI: ; @bluestein_single_back_len3000_dim1_half_op_CI_CI
; %bb.0:
	s_load_dwordx4 s[16:19], s[4:5], 0x28
	v_mul_u32_u24_e32 v1, 0x290, v0
	v_add_u32_sdwa v48, s6, v1 dst_sel:DWORD dst_unused:UNUSED_PAD src0_sel:DWORD src1_sel:WORD_1
	v_mov_b32_e32 v49, 0
	s_waitcnt lgkmcnt(0)
	v_cmp_gt_u64_e32 vcc, s[16:17], v[48:49]
	s_and_saveexec_b64 s[0:1], vcc
	s_cbranch_execz .LBB0_2
; %bb.1:
	s_load_dwordx4 s[8:11], s[4:5], 0x18
	s_load_dwordx4 s[0:3], s[4:5], 0x0
	s_movk_i32 s16, 0x64
	v_mul_lo_u16_sdwa v1, v1, s16 dst_sel:DWORD dst_unused:UNUSED_PAD src0_sel:WORD_1 src1_sel:DWORD
	v_sub_u16_e32 v119, v0, v1
	s_waitcnt lgkmcnt(0)
	s_load_dwordx4 s[12:15], s[8:9], 0x0
	v_lshlrev_b32_e32 v123, 2, v119
	global_load_dword v121, v123, s[0:1]
	s_movk_i32 s8, 0x1000
	v_mov_b32_e32 v93, 0xffffd760
	s_waitcnt lgkmcnt(0)
	v_mad_u64_u32 v[0:1], s[6:7], s14, v48, 0
	v_mad_u64_u32 v[2:3], s[6:7], s12, v119, 0
	v_add_u32_e32 v109, 0x400, v123
	v_add_u32_e32 v129, 0xa00, v123
	v_mad_u64_u32 v[4:5], s[6:7], s15, v48, v[1:2]
	v_add_u32_e32 v107, 0xe00, v123
	v_add_u32_e32 v125, 0x1400, v123
	v_mad_u64_u32 v[5:6], s[6:7], s13, v119, v[3:4]
	v_mov_b32_e32 v1, v4
	v_lshlrev_b64 v[0:1], 2, v[0:1]
	v_mov_b32_e32 v6, s19
	v_mov_b32_e32 v3, v5
	v_add_co_u32_e32 v4, vcc, s18, v0
	v_addc_co_u32_e32 v5, vcc, v6, v1, vcc
	v_lshlrev_b64 v[0:1], 2, v[2:3]
	s_mul_i32 s6, s13, 0x4b0
	v_add_co_u32_e32 v0, vcc, v4, v0
	s_mul_hi_u32 s7, s12, 0x4b0
	v_addc_co_u32_e32 v1, vcc, v5, v1, vcc
	s_add_i32 s6, s7, s6
	s_mul_i32 s7, s12, 0x4b0
	global_load_dword v4, v[0:1], off
	v_mov_b32_e32 v2, s6
	v_add_co_u32_e32 v0, vcc, s7, v0
	v_addc_co_u32_e32 v1, vcc, v1, v2, vcc
	global_load_dword v5, v[0:1], off
	global_load_dword v118, v123, s[0:1] offset:1200
	v_add_co_u32_e32 v0, vcc, s7, v0
	v_addc_co_u32_e32 v1, vcc, v1, v2, vcc
	global_load_dword v6, v[0:1], off
	global_load_dword v116, v123, s[0:1] offset:2400
	;; [unrolled: 4-line block ×3, first 2 shown]
	v_mov_b32_e32 v3, s6
	v_add_co_u32_e32 v2, vcc, s7, v0
	v_addc_co_u32_e32 v3, vcc, v1, v3, vcc
	v_mov_b32_e32 v0, s1
	v_add_co_u32_e32 v132, vcc, s0, v123
	v_addc_co_u32_e32 v133, vcc, 0, v0, vcc
	v_add_co_u32_e32 v0, vcc, s8, v132
	global_load_dword v8, v[2:3], off
	v_addc_co_u32_e32 v1, vcc, 0, v133, vcc
	global_load_dword v112, v[0:1], off offset:704
	v_mov_b32_e32 v9, s6
	v_add_co_u32_e32 v2, vcc, s7, v2
	v_addc_co_u32_e32 v3, vcc, v3, v9, vcc
	s_load_dwordx4 s[8:11], s[10:11], 0x0
	global_load_dword v105, v123, s[0:1] offset:400
	global_load_dword v9, v[2:3], off
	global_load_dword v111, v[0:1], off offset:1904
	global_load_dword v104, v123, s[0:1] offset:1600
	global_load_dword v101, v123, s[0:1] offset:2800
	global_load_dword v91, v123, s[0:1] offset:2000
	global_load_dword v92, v123, s[0:1] offset:800
	global_load_dword v113, v[0:1], off offset:3104
	v_mov_b32_e32 v10, s6
	v_add_co_u32_e32 v2, vcc, s7, v2
	v_addc_co_u32_e32 v3, vcc, v3, v10, vcc
	global_load_dword v10, v[2:3], off
	v_add_co_u32_e32 v2, vcc, s7, v2
	v_mov_b32_e32 v16, s6
	v_mov_b32_e32 v18, s6
	v_mov_b32_e32 v19, s6
	v_mov_b32_e32 v21, s6
	v_add_u32_e32 v106, 0x1800, v123
	v_add_u32_e32 v124, 0x1c00, v123
	;; [unrolled: 1-line block ×12, first 2 shown]
	s_movk_i32 s14, 0xc8
	s_movk_i32 s15, 0x258
	;; [unrolled: 1-line block ×3, first 2 shown]
	s_load_dwordx2 s[4:5], s[4:5], 0x38
	s_waitcnt vmcnt(17)
	v_lshrrev_b32_e32 v11, 16, v4
	v_mul_f16_sdwa v12, v121, v4 dst_sel:DWORD dst_unused:UNUSED_PAD src0_sel:WORD_1 src1_sel:DWORD
	v_mul_f16_sdwa v13, v121, v11 dst_sel:DWORD dst_unused:UNUSED_PAD src0_sel:WORD_1 src1_sel:DWORD
	v_fma_f16 v11, v121, v11, -v12
	v_fma_f16 v4, v121, v4, v13
	s_waitcnt vmcnt(16)
	v_lshrrev_b32_e32 v12, 16, v5
	s_waitcnt vmcnt(15)
	v_mul_f16_sdwa v14, v118, v5 dst_sel:DWORD dst_unused:UNUSED_PAD src0_sel:WORD_1 src1_sel:DWORD
	v_mul_f16_sdwa v13, v118, v12 dst_sel:DWORD dst_unused:UNUSED_PAD src0_sel:WORD_1 src1_sel:DWORD
	v_fma_f16 v12, v118, v12, -v14
	v_fma_f16 v5, v118, v5, v13
	s_waitcnt vmcnt(14)
	v_lshrrev_b32_e32 v14, 16, v6
	s_waitcnt vmcnt(13)
	v_mul_f16_sdwa v15, v116, v6 dst_sel:DWORD dst_unused:UNUSED_PAD src0_sel:WORD_1 src1_sel:DWORD
	v_pack_b32_f16 v4, v4, v11
	v_mul_f16_sdwa v11, v116, v14 dst_sel:DWORD dst_unused:UNUSED_PAD src0_sel:WORD_1 src1_sel:DWORD
	v_pack_b32_f16 v5, v5, v12
	v_fma_f16 v6, v116, v6, v11
	ds_write_b32 v123, v5 offset:1200
	v_fma_f16 v5, v116, v14, -v15
	v_pack_b32_f16 v5, v6, v5
	ds_write_b32 v123, v5 offset:2400
	s_waitcnt vmcnt(12)
	v_lshrrev_b32_e32 v5, 16, v7
	s_waitcnt vmcnt(11)
	v_mul_f16_sdwa v6, v115, v5 dst_sel:DWORD dst_unused:UNUSED_PAD src0_sel:WORD_1 src1_sel:DWORD
	v_fma_f16 v6, v115, v7, v6
	v_mul_f16_sdwa v7, v115, v7 dst_sel:DWORD dst_unused:UNUSED_PAD src0_sel:WORD_1 src1_sel:DWORD
	v_fma_f16 v5, v115, v5, -v7
	v_pack_b32_f16 v5, v6, v5
	v_mov_b32_e32 v6, s6
	global_load_dword v102, v123, s[0:1] offset:4000
	global_load_dword v90, v123, s[0:1] offset:3200
	v_addc_co_u32_e32 v3, vcc, v3, v6, vcc
	s_movk_i32 s0, 0x2000
	v_add_co_u32_e32 v69, vcc, s0, v132
	ds_write_b32 v123, v5 offset:3600
	v_addc_co_u32_e32 v70, vcc, 0, v133, vcc
	s_waitcnt vmcnt(12)
	v_lshrrev_b32_e32 v5, 16, v8
	global_load_dword v6, v[2:3], off
	global_load_dword v100, v[0:1], off offset:1104
	global_load_dword v98, v[0:1], off offset:2304
	;; [unrolled: 1-line block ×6, first 2 shown]
	s_waitcnt vmcnt(18)
	v_mul_f16_sdwa v7, v112, v5 dst_sel:DWORD dst_unused:UNUSED_PAD src0_sel:WORD_1 src1_sel:DWORD
	v_fma_f16 v7, v112, v8, v7
	v_mul_f16_sdwa v8, v112, v8 dst_sel:DWORD dst_unused:UNUSED_PAD src0_sel:WORD_1 src1_sel:DWORD
	v_fma_f16 v5, v112, v5, -v8
	v_mov_b32_e32 v8, s6
	v_add_co_u32_e32 v2, vcc, s7, v2
	v_addc_co_u32_e32 v3, vcc, v3, v8, vcc
	global_load_dword v8, v[2:3], off
	global_load_dword v110, v[69:70], off offset:1408
	v_pack_b32_f16 v5, v7, v5
	v_mov_b32_e32 v7, s6
	v_add_co_u32_e32 v2, vcc, s7, v2
	v_addc_co_u32_e32 v3, vcc, v3, v7, vcc
	global_load_dword v7, v[2:3], off
	global_load_dword v108, v[69:70], off offset:2608
	v_mad_u64_u32 v[2:3], s[0:1], s12, v93, v[2:3]
	s_mul_i32 s0, s13, 0xffffd760
	s_sub_i32 s13, s0, s12
	ds_write_b32 v123, v5 offset:4800
	s_waitcnt vmcnt(20)
	v_lshrrev_b32_e32 v5, 16, v9
	v_add_u32_e32 v3, s13, v3
	s_waitcnt vmcnt(19)
	v_mul_f16_sdwa v11, v111, v5 dst_sel:DWORD dst_unused:UNUSED_PAD src0_sel:WORD_1 src1_sel:DWORD
	global_load_dword v12, v[2:3], off
	v_fma_f16 v11, v111, v9, v11
	v_mul_f16_sdwa v9, v111, v9 dst_sel:DWORD dst_unused:UNUSED_PAD src0_sel:WORD_1 src1_sel:DWORD
	v_fma_f16 v5, v111, v5, -v9
	v_mov_b32_e32 v9, s6
	v_add_co_u32_e32 v2, vcc, s7, v2
	v_addc_co_u32_e32 v3, vcc, v3, v9, vcc
	global_load_dword v9, v[2:3], off
	v_mov_b32_e32 v13, s6
	v_add_co_u32_e32 v2, vcc, s7, v2
	v_addc_co_u32_e32 v3, vcc, v3, v13, vcc
	global_load_dword v13, v[2:3], off
	;; [unrolled: 4-line block ×4, first 2 shown]
	v_add_co_u32_e32 v2, vcc, s7, v2
	v_addc_co_u32_e32 v3, vcc, v3, v16, vcc
	v_pack_b32_f16 v5, v11, v5
	global_load_dword v16, v[2:3], off
	ds_write_b32 v123, v5 offset:6000
	s_waitcnt vmcnt(19)
	v_lshrrev_b32_e32 v5, 16, v10
	v_mul_f16_sdwa v11, v113, v5 dst_sel:DWORD dst_unused:UNUSED_PAD src0_sel:WORD_1 src1_sel:DWORD
	v_fma_f16 v11, v113, v10, v11
	v_mul_f16_sdwa v10, v113, v10 dst_sel:DWORD dst_unused:UNUSED_PAD src0_sel:WORD_1 src1_sel:DWORD
	v_fma_f16 v5, v113, v5, -v10
	v_pack_b32_f16 v5, v11, v5
	v_mov_b32_e32 v10, s6
	v_add_co_u32_e32 v2, vcc, s7, v2
	ds_write_b32 v123, v5 offset:7200
	v_addc_co_u32_e32 v3, vcc, v3, v10, vcc
	global_load_dword v10, v[2:3], off
	global_load_dword v96, v[69:70], off offset:608
	global_load_dword v95, v[69:70], off offset:1808
	;; [unrolled: 1-line block ×5, first 2 shown]
	s_waitcnt vmcnt(22)
	v_lshrrev_b32_e32 v5, 16, v6
	global_load_dword v99, v[0:1], off offset:3504
	v_add_co_u32_e32 v2, vcc, s7, v2
	s_waitcnt vmcnt(17)
	v_mul_f16_sdwa v11, v114, v5 dst_sel:DWORD dst_unused:UNUSED_PAD src0_sel:WORD_1 src1_sel:DWORD
	v_fma_f16 v11, v114, v6, v11
	v_mul_f16_sdwa v6, v114, v6 dst_sel:DWORD dst_unused:UNUSED_PAD src0_sel:WORD_1 src1_sel:DWORD
	v_fma_f16 v5, v114, v5, -v6
	v_pack_b32_f16 v5, v11, v5
	ds_write_b32 v123, v5 offset:8400
	s_waitcnt vmcnt(16)
	v_lshrrev_b32_e32 v5, 16, v8
	s_waitcnt vmcnt(15)
	v_mul_f16_sdwa v6, v110, v5 dst_sel:DWORD dst_unused:UNUSED_PAD src0_sel:WORD_1 src1_sel:DWORD
	v_fma_f16 v6, v110, v8, v6
	v_mul_f16_sdwa v8, v110, v8 dst_sel:DWORD dst_unused:UNUSED_PAD src0_sel:WORD_1 src1_sel:DWORD
	v_fma_f16 v5, v110, v5, -v8
	v_pack_b32_f16 v5, v6, v5
	ds_write_b32 v123, v5 offset:9600
	s_waitcnt vmcnt(14)
	v_lshrrev_b32_e32 v5, 16, v7
	s_waitcnt vmcnt(13)
	v_mul_f16_sdwa v6, v108, v5 dst_sel:DWORD dst_unused:UNUSED_PAD src0_sel:WORD_1 src1_sel:DWORD
	v_fma_f16 v6, v108, v7, v6
	v_mul_f16_sdwa v7, v108, v7 dst_sel:DWORD dst_unused:UNUSED_PAD src0_sel:WORD_1 src1_sel:DWORD
	v_fma_f16 v5, v108, v5, -v7
	v_pack_b32_f16 v5, v6, v5
	v_mov_b32_e32 v6, s6
	v_addc_co_u32_e32 v3, vcc, v3, v6, vcc
	global_load_dword v6, v[2:3], off
	ds_write_b32 v123, v5 offset:10800
	s_waitcnt vmcnt(13)
	v_lshrrev_b32_e32 v5, 16, v12
	v_mul_f16_sdwa v7, v105, v5 dst_sel:DWORD dst_unused:UNUSED_PAD src0_sel:WORD_1 src1_sel:DWORD
	v_mul_f16_sdwa v8, v105, v12 dst_sel:DWORD dst_unused:UNUSED_PAD src0_sel:WORD_1 src1_sel:DWORD
	v_fma_f16 v7, v105, v12, v7
	v_fma_f16 v5, v105, v5, -v8
	v_pack_b32_f16 v5, v7, v5
	ds_write2_b32 v123, v4, v5 offset1:100
	v_add_co_u32_e32 v2, vcc, s7, v2
	s_waitcnt vmcnt(12)
	v_lshrrev_b32_e32 v4, 16, v9
	v_mul_f16_sdwa v5, v104, v4 dst_sel:DWORD dst_unused:UNUSED_PAD src0_sel:WORD_1 src1_sel:DWORD
	v_fma_f16 v5, v104, v9, v5
	v_mul_f16_sdwa v7, v104, v9 dst_sel:DWORD dst_unused:UNUSED_PAD src0_sel:WORD_1 src1_sel:DWORD
	v_mov_b32_e32 v9, s6
	v_addc_co_u32_e32 v3, vcc, v3, v9, vcc
	global_load_dword v9, v[2:3], off
	v_fma_f16 v4, v104, v4, -v7
	v_pack_b32_f16 v4, v5, v4
	s_waitcnt vmcnt(12)
	v_lshrrev_b32_e32 v5, 16, v13
	v_mul_f16_sdwa v7, v101, v5 dst_sel:DWORD dst_unused:UNUSED_PAD src0_sel:WORD_1 src1_sel:DWORD
	v_mul_f16_sdwa v8, v101, v13 dst_sel:DWORD dst_unused:UNUSED_PAD src0_sel:WORD_1 src1_sel:DWORD
	v_fma_f16 v7, v101, v13, v7
	v_fma_f16 v5, v101, v5, -v8
	v_pack_b32_f16 v5, v7, v5
	s_waitcnt vmcnt(11)
	v_lshrrev_b32_e32 v7, 16, v14
	v_mul_f16_sdwa v8, v102, v7 dst_sel:DWORD dst_unused:UNUSED_PAD src0_sel:WORD_1 src1_sel:DWORD
	v_fma_f16 v8, v102, v14, v8
	v_mul_f16_sdwa v11, v102, v14 dst_sel:DWORD dst_unused:UNUSED_PAD src0_sel:WORD_1 src1_sel:DWORD
	v_mov_b32_e32 v14, s6
	v_add_co_u32_e32 v2, vcc, s7, v2
	v_addc_co_u32_e32 v3, vcc, v3, v14, vcc
	v_fma_f16 v7, v102, v7, -v11
	global_load_dword v14, v[2:3], off
	v_mad_u64_u32 v[2:3], s[0:1], s12, v93, v[2:3]
	v_pack_b32_f16 v7, v8, v7
	s_waitcnt vmcnt(11)
	v_lshrrev_b32_e32 v8, 16, v15
	v_mul_f16_sdwa v11, v100, v8 dst_sel:DWORD dst_unused:UNUSED_PAD src0_sel:WORD_1 src1_sel:DWORD
	v_mul_f16_sdwa v12, v100, v15 dst_sel:DWORD dst_unused:UNUSED_PAD src0_sel:WORD_1 src1_sel:DWORD
	v_fma_f16 v11, v100, v15, v11
	v_fma_f16 v8, v100, v8, -v12
	v_pack_b32_f16 v8, v11, v8
	s_waitcnt vmcnt(10)
	v_lshrrev_b32_e32 v11, 16, v16
	v_mul_f16_sdwa v13, v98, v16 dst_sel:DWORD dst_unused:UNUSED_PAD src0_sel:WORD_1 src1_sel:DWORD
	v_add_u32_e32 v3, s13, v3
	v_mul_f16_sdwa v12, v98, v11 dst_sel:DWORD dst_unused:UNUSED_PAD src0_sel:WORD_1 src1_sel:DWORD
	v_fma_f16 v11, v98, v11, -v13
	global_load_dword v13, v[2:3], off
	v_fma_f16 v12, v98, v16, v12
	v_mov_b32_e32 v15, s6
	v_add_co_u32_e32 v2, vcc, s7, v2
	v_pack_b32_f16 v11, v12, v11
	s_waitcnt vmcnt(10)
	v_lshrrev_b32_e32 v12, 16, v10
	v_addc_co_u32_e32 v3, vcc, v3, v15, vcc
	global_load_dword v15, v[2:3], off
	global_load_dword v87, v[0:1], off offset:3904
	s_waitcnt vmcnt(6)
	v_mul_f16_sdwa v0, v99, v12 dst_sel:DWORD dst_unused:UNUSED_PAD src0_sel:WORD_1 src1_sel:DWORD
	v_fma_f16 v16, v99, v10, v0
	v_mov_b32_e32 v1, s6
	v_add_co_u32_e32 v0, vcc, s7, v2
	v_addc_co_u32_e32 v1, vcc, v3, v1, vcc
	global_load_dword v2, v[0:1], off
	v_mul_f16_sdwa v3, v99, v10 dst_sel:DWORD dst_unused:UNUSED_PAD src0_sel:WORD_1 src1_sel:DWORD
	v_mov_b32_e32 v10, s6
	v_add_co_u32_e32 v0, vcc, s7, v0
	v_addc_co_u32_e32 v1, vcc, v1, v10, vcc
	global_load_dword v10, v[0:1], off
	v_fma_f16 v3, v99, v12, -v3
	v_pack_b32_f16 v3, v16, v3
	v_mov_b32_e32 v16, s6
	v_add_co_u32_e32 v0, vcc, s7, v0
	v_addc_co_u32_e32 v1, vcc, v1, v16, vcc
	global_load_dword v16, v[0:1], off
	v_add_co_u32_e32 v0, vcc, s7, v0
	s_waitcnt vmcnt(8)
	v_lshrrev_b32_e32 v12, 16, v6
	v_addc_co_u32_e32 v1, vcc, v1, v18, vcc
	v_mul_f16_sdwa v17, v96, v12 dst_sel:DWORD dst_unused:UNUSED_PAD src0_sel:WORD_1 src1_sel:DWORD
	global_load_dword v18, v[0:1], off
	v_fma_f16 v17, v96, v6, v17
	v_mul_f16_sdwa v6, v96, v6 dst_sel:DWORD dst_unused:UNUSED_PAD src0_sel:WORD_1 src1_sel:DWORD
	v_fma_f16 v6, v96, v12, -v6
	v_mov_b32_e32 v12, s6
	v_add_co_u32_e32 v0, vcc, s7, v0
	v_addc_co_u32_e32 v1, vcc, v1, v12, vcc
	global_load_dword v12, v[0:1], off
	v_add_co_u32_e32 v0, vcc, s7, v0
	v_addc_co_u32_e32 v1, vcc, v1, v19, vcc
	global_load_dword v19, v[0:1], off
	v_add_co_u32_e32 v0, vcc, s7, v0
	v_addc_co_u32_e32 v1, vcc, v1, v21, vcc
	v_pack_b32_f16 v6, v17, v6
	s_waitcnt vmcnt(10)
	v_lshrrev_b32_e32 v17, 16, v9
	global_load_dword v21, v[0:1], off
	v_mul_f16_sdwa v20, v95, v17 dst_sel:DWORD dst_unused:UNUSED_PAD src0_sel:WORD_1 src1_sel:DWORD
	v_fma_f16 v20, v95, v9, v20
	v_mul_f16_sdwa v9, v95, v9 dst_sel:DWORD dst_unused:UNUSED_PAD src0_sel:WORD_1 src1_sel:DWORD
	v_fma_f16 v9, v95, v17, -v9
	v_mov_b32_e32 v17, s6
	v_add_co_u32_e32 v0, vcc, s7, v0
	v_addc_co_u32_e32 v1, vcc, v1, v17, vcc
	global_load_dword v17, v[0:1], off
	global_load_dword v84, v[69:70], off offset:3408
	s_waitcnt vmcnt(12)
	v_lshrrev_b32_e32 v1, 16, v14
	v_pack_b32_f16 v0, v20, v9
	v_mul_f16_sdwa v9, v94, v1 dst_sel:DWORD dst_unused:UNUSED_PAD src0_sel:WORD_1 src1_sel:DWORD
	v_fma_f16 v9, v94, v14, v9
	v_mul_f16_sdwa v14, v94, v14 dst_sel:DWORD dst_unused:UNUSED_PAD src0_sel:WORD_1 src1_sel:DWORD
	v_fma_f16 v1, v94, v1, -v14
	v_pack_b32_f16 v1, v9, v1
	s_movk_i32 s1, 0x3b9c
	s_mov_b32 s12, 0xbb9c
	s_waitcnt vmcnt(11)
	v_lshrrev_b32_e32 v9, 16, v13
	v_mul_f16_sdwa v14, v92, v9 dst_sel:DWORD dst_unused:UNUSED_PAD src0_sel:WORD_1 src1_sel:DWORD
	v_fma_f16 v14, v92, v13, v14
	v_mul_f16_sdwa v13, v92, v13 dst_sel:DWORD dst_unused:UNUSED_PAD src0_sel:WORD_1 src1_sel:DWORD
	v_fma_f16 v9, v92, v9, -v13
	v_pack_b32_f16 v9, v14, v9
	ds_write_b32 v123, v9 offset:800
	s_mov_b32 s7, 0xb8b4
	s_waitcnt vmcnt(10)
	v_lshrrev_b32_e32 v9, 16, v15
	v_mul_f16_sdwa v13, v91, v9 dst_sel:DWORD dst_unused:UNUSED_PAD src0_sel:WORD_1 src1_sel:DWORD
	v_mul_f16_sdwa v14, v91, v15 dst_sel:DWORD dst_unused:UNUSED_PAD src0_sel:WORD_1 src1_sel:DWORD
	v_fma_f16 v13, v91, v15, v13
	v_fma_f16 v9, v91, v9, -v14
	v_pack_b32_f16 v9, v13, v9
	ds_write2_b32 v109, v4, v9 offset0:144 offset1:244
	s_movk_i32 s0, 0x38b4
	s_movk_i32 s6, 0x34f2
	s_waitcnt vmcnt(8)
	v_lshrrev_b32_e32 v4, 16, v2
	v_mul_f16_sdwa v9, v90, v4 dst_sel:DWORD dst_unused:UNUSED_PAD src0_sel:WORD_1 src1_sel:DWORD
	v_fma_f16 v9, v90, v2, v9
	v_mul_f16_sdwa v2, v90, v2 dst_sel:DWORD dst_unused:UNUSED_PAD src0_sel:WORD_1 src1_sel:DWORD
	v_fma_f16 v2, v90, v4, -v2
	v_pack_b32_f16 v2, v9, v2
	ds_write2_b32 v129, v5, v2 offset0:60 offset1:160
	s_waitcnt vmcnt(7)
	v_lshrrev_b32_e32 v2, 16, v10
	v_mul_f16_sdwa v4, v89, v2 dst_sel:DWORD dst_unused:UNUSED_PAD src0_sel:WORD_1 src1_sel:DWORD
	v_mul_f16_sdwa v5, v89, v10 dst_sel:DWORD dst_unused:UNUSED_PAD src0_sel:WORD_1 src1_sel:DWORD
	v_fma_f16 v4, v89, v10, v4
	v_fma_f16 v2, v89, v2, -v5
	v_pack_b32_f16 v2, v4, v2
	ds_write2_b32 v107, v7, v2 offset0:104 offset1:204
	s_movk_i32 s13, 0x3a79
	s_waitcnt vmcnt(6)
	v_lshrrev_b32_e32 v2, 16, v16
	v_mul_f16_sdwa v4, v88, v2 dst_sel:DWORD dst_unused:UNUSED_PAD src0_sel:WORD_1 src1_sel:DWORD
	v_mul_f16_sdwa v5, v88, v16 dst_sel:DWORD dst_unused:UNUSED_PAD src0_sel:WORD_1 src1_sel:DWORD
	v_fma_f16 v4, v88, v16, v4
	v_fma_f16 v2, v88, v2, -v5
	v_pack_b32_f16 v2, v4, v2
	ds_write2_b32 v125, v8, v2 offset0:20 offset1:120
	s_waitcnt vmcnt(5)
	v_lshrrev_b32_e32 v2, 16, v18
	v_mul_f16_sdwa v4, v86, v2 dst_sel:DWORD dst_unused:UNUSED_PAD src0_sel:WORD_1 src1_sel:DWORD
	v_mul_f16_sdwa v5, v86, v18 dst_sel:DWORD dst_unused:UNUSED_PAD src0_sel:WORD_1 src1_sel:DWORD
	v_fma_f16 v4, v86, v18, v4
	v_fma_f16 v2, v86, v2, -v5
	v_pack_b32_f16 v2, v4, v2
	ds_write2_b32 v106, v11, v2 offset0:64 offset1:164
	;; [unrolled: 8-line block ×5, first 2 shown]
	s_waitcnt vmcnt(1)
	v_lshrrev_b32_e32 v0, 16, v17
	s_waitcnt vmcnt(0)
	v_mul_f16_sdwa v2, v84, v0 dst_sel:DWORD dst_unused:UNUSED_PAD src0_sel:WORD_1 src1_sel:DWORD
	v_mul_f16_sdwa v3, v84, v17 dst_sel:DWORD dst_unused:UNUSED_PAD src0_sel:WORD_1 src1_sel:DWORD
	v_fma_f16 v2, v84, v17, v2
	v_fma_f16 v0, v84, v0, -v3
	v_pack_b32_f16 v0, v2, v0
	ds_write2_b32 v97, v1, v0 offset0:112 offset1:212
	s_waitcnt lgkmcnt(0)
	s_barrier
	ds_read2_b32 v[10:11], v128 offset0:88 offset1:188
	ds_read2_b32 v[12:13], v123 offset1:100
	ds_read2_b32 v[0:1], v127 offset0:32 offset1:132
	ds_read2_b32 v[14:15], v126 offset0:48 offset1:148
	;; [unrolled: 1-line block ×6, first 2 shown]
	s_waitcnt lgkmcnt(6)
	v_lshrrev_b32_e32 v21, 16, v12
	s_waitcnt lgkmcnt(4)
	v_sub_f16_e32 v8, v14, v10
	s_waitcnt lgkmcnt(2)
	v_add_f16_e32 v6, v10, v16
	s_waitcnt lgkmcnt(1)
	v_sub_f16_sdwa v23, v14, v18 dst_sel:DWORD dst_unused:UNUSED_PAD src0_sel:WORD_1 src1_sel:WORD_1
	v_fma_f16 v6, v6, -0.5, v12
	v_sub_f16_sdwa v22, v10, v16 dst_sel:DWORD dst_unused:UNUSED_PAD src0_sel:WORD_1 src1_sel:WORD_1
	v_fma_f16 v7, v23, s12, v6
	v_sub_f16_e32 v9, v18, v16
	v_fma_f16 v6, v23, s1, v6
	v_add_f16_e32 v8, v8, v9
	v_fma_f16 v6, v22, s7, v6
	v_fma_f16 v7, v22, s0, v7
	;; [unrolled: 1-line block ×3, first 2 shown]
	v_add_f16_sdwa v6, v10, v16 dst_sel:DWORD dst_unused:UNUSED_PAD src0_sel:WORD_1 src1_sel:WORD_1
	v_fma_f16 v25, v8, s6, v7
	v_sub_f16_e32 v27, v14, v18
	v_fma_f16 v6, v6, -0.5, v21
	v_sub_f16_sdwa v7, v14, v10 dst_sel:DWORD dst_unused:UNUSED_PAD src0_sel:WORD_1 src1_sel:WORD_1
	v_sub_f16_sdwa v8, v18, v16 dst_sel:DWORD dst_unused:UNUSED_PAD src0_sel:WORD_1 src1_sel:WORD_1
	v_sub_f16_e32 v26, v10, v16
	v_add_f16_e32 v8, v7, v8
	v_fma_f16 v7, v27, s1, v6
	v_fma_f16 v7, v26, s7, v7
	;; [unrolled: 1-line block ×5, first 2 shown]
	ds_read2_b32 v[6:7], v117 offset0:40 offset1:140
	v_fma_f16 v24, v8, s6, v9
	ds_read2_b32 v[8:9], v131 offset0:72 offset1:172
	v_sub_f16_e32 v28, v3, v1
	s_waitcnt lgkmcnt(2)
	v_sub_f16_sdwa v42, v3, v5 dst_sel:DWORD dst_unused:UNUSED_PAD src0_sel:WORD_1 src1_sel:WORD_1
	s_waitcnt lgkmcnt(1)
	v_sub_f16_e32 v29, v5, v7
	v_add_f16_e32 v28, v28, v29
	v_add_f16_e32 v29, v1, v7
	s_waitcnt lgkmcnt(0)
	v_fma_f16 v29, v29, -0.5, v9
	v_sub_f16_sdwa v41, v1, v7 dst_sel:DWORD dst_unused:UNUSED_PAD src0_sel:WORD_1 src1_sel:WORD_1
	v_fma_f16 v30, v42, s12, v29
	v_fma_f16 v29, v42, s1, v29
	;; [unrolled: 1-line block ×6, first 2 shown]
	v_sub_f16_sdwa v29, v3, v1 dst_sel:DWORD dst_unused:UNUSED_PAD src0_sel:WORD_1 src1_sel:WORD_1
	v_sub_f16_sdwa v31, v5, v7 dst_sel:DWORD dst_unused:UNUSED_PAD src0_sel:WORD_1 src1_sel:WORD_1
	v_add_f16_e32 v29, v29, v31
	v_lshrrev_b32_e32 v31, 16, v9
	v_add_f16_sdwa v32, v1, v7 dst_sel:DWORD dst_unused:UNUSED_PAD src0_sel:WORD_1 src1_sel:WORD_1
	v_fma_f16 v32, v32, -0.5, v31
	v_sub_f16_e32 v44, v3, v5
	v_sub_f16_e32 v43, v1, v7
	v_fma_f16 v33, v44, s1, v32
	v_fma_f16 v33, v43, s7, v33
	v_fma_f16 v32, v44, s12, v32
	v_fma_f16 v33, v29, s6, v33
	v_fma_f16 v32, v43, s0, v32
	v_fma_f16 v29, v29, s6, v32
	v_mul_f16_e32 v32, 0x3b9c, v33
	v_fma_f16 v45, v30, s6, v32
	v_mul_f16_e32 v30, 0xbb9c, v30
	v_fma_f16 v46, v33, s6, v30
	;; [unrolled: 2-line block ×4, first 2 shown]
	v_add_f16_e32 v28, v20, v47
	v_add_f16_e32 v29, v24, v49
	v_pack_b32_f16 v29, v28, v29
	v_add_f16_e32 v28, v25, v45
	v_add_f16_e32 v30, v40, v46
	v_pack_b32_f16 v28, v28, v30
	v_sub_f16_e32 v30, v10, v14
	v_sub_f16_e32 v32, v16, v18
	v_add_f16_e32 v50, v30, v32
	v_sub_f16_sdwa v30, v10, v14 dst_sel:DWORD dst_unused:UNUSED_PAD src0_sel:WORD_1 src1_sel:WORD_1
	v_sub_f16_sdwa v32, v16, v18 dst_sel:DWORD dst_unused:UNUSED_PAD src0_sel:WORD_1 src1_sel:WORD_1
	v_add_f16_e32 v51, v30, v32
	v_sub_f16_e32 v30, v1, v3
	v_sub_f16_e32 v32, v7, v5
	v_add_f16_e32 v52, v30, v32
	v_sub_f16_sdwa v30, v1, v3 dst_sel:DWORD dst_unused:UNUSED_PAD src0_sel:WORD_1 src1_sel:WORD_1
	v_sub_f16_sdwa v32, v7, v5 dst_sel:DWORD dst_unused:UNUSED_PAD src0_sel:WORD_1 src1_sel:WORD_1
	v_add_f16_e32 v53, v30, v32
	v_add_f16_e32 v30, v3, v5
	v_fma_f16 v54, v30, -0.5, v9
	v_add_f16_sdwa v32, v3, v5 dst_sel:DWORD dst_unused:UNUSED_PAD src0_sel:WORD_1 src1_sel:WORD_1
	v_fma_f16 v30, v41, s1, v54
	v_fma_f16 v55, v32, -0.5, v31
	v_fma_f16 v30, v42, s0, v30
	v_fma_f16 v32, v43, s12, v55
	;; [unrolled: 1-line block ×5, first 2 shown]
	v_mul_f16_e32 v33, 0x3a79, v30
	v_mul_f16_e32 v30, 0xb8b4, v30
	v_fma_f16 v57, v32, s13, v30
	v_add_f16_e32 v30, v12, v10
	v_add_f16_e32 v30, v30, v14
	;; [unrolled: 1-line block ×5, first 2 shown]
	v_fma_f16 v12, v30, -0.5, v12
	v_fma_f16 v30, v22, s1, v12
	v_fma_f16 v30, v23, s0, v30
	v_add_f16_sdwa v10, v21, v10 dst_sel:DWORD dst_unused:UNUSED_PAD src0_sel:DWORD src1_sel:WORD_1
	v_fma_f16 v59, v50, s6, v30
	v_add_f16_sdwa v30, v14, v18 dst_sel:DWORD dst_unused:UNUSED_PAD src0_sel:WORD_1 src1_sel:WORD_1
	v_add_f16_sdwa v10, v10, v14 dst_sel:DWORD dst_unused:UNUSED_PAD src0_sel:DWORD src1_sel:WORD_1
	v_fma_f16 v60, v30, -0.5, v21
	v_add_f16_sdwa v10, v10, v18 dst_sel:DWORD dst_unused:UNUSED_PAD src0_sel:DWORD src1_sel:WORD_1
	v_add_f16_sdwa v14, v10, v16 dst_sel:DWORD dst_unused:UNUSED_PAD src0_sel:DWORD src1_sel:WORD_1
	v_fma_f16 v10, v26, s12, v60
	v_add_f16_e32 v9, v9, v1
	v_add_f16_sdwa v1, v31, v1 dst_sel:DWORD dst_unused:UNUSED_PAD src0_sel:DWORD src1_sel:WORD_1
	v_fma_f16 v10, v27, s7, v10
	v_add_f16_e32 v9, v9, v3
	v_add_f16_sdwa v1, v1, v3 dst_sel:DWORD dst_unused:UNUSED_PAD src0_sel:DWORD src1_sel:WORD_1
	v_fma_f16 v56, v32, s0, v33
	v_fma_f16 v16, v51, s6, v10
	v_add_f16_e32 v9, v9, v5
	v_add_f16_sdwa v1, v1, v5 dst_sel:DWORD dst_unused:UNUSED_PAD src0_sel:DWORD src1_sel:WORD_1
	v_add_f16_e32 v18, v9, v7
	v_add_f16_sdwa v1, v1, v7 dst_sel:DWORD dst_unused:UNUSED_PAD src0_sel:DWORD src1_sel:WORD_1
	v_add_f16_e32 v3, v59, v56
	v_add_f16_e32 v5, v16, v57
	v_pack_b32_f16 v10, v3, v5
	v_add_f16_e32 v3, v58, v18
	v_add_f16_e32 v5, v14, v1
	v_pack_b32_f16 v9, v3, v5
	v_mul_lo_u16_e32 v3, 10, v119
	v_lshlrev_b32_e32 v134, 2, v3
	v_sub_f16_e32 v3, v59, v56
	v_sub_f16_e32 v7, v16, v57
	ds_read2_b32 v[30:31], v109 offset0:144 offset1:244
	ds_read2_b32 v[32:33], v107 offset0:104 offset1:204
	;; [unrolled: 1-line block ×5, first 2 shown]
	s_waitcnt lgkmcnt(0)
	s_barrier
	ds_write2_b64 v134, v[9:10], v[28:29] offset1:1
	v_pack_b32_f16 v9, v3, v7
	v_fma_f16 v7, v41, s12, v54
	v_fma_f16 v3, v22, s12, v12
	v_fma_f16 v7, v42, s7, v7
	v_fma_f16 v12, v43, s1, v55
	v_sub_f16_e32 v5, v25, v45
	v_sub_f16_e32 v10, v40, v46
	v_fma_f16 v7, v52, s6, v7
	v_fma_f16 v12, v44, s0, v12
	v_pack_b32_f16 v10, v5, v10
	v_fma_f16 v5, v26, s1, v60
	v_fma_f16 v12, v53, s6, v12
	v_mul_f16_e32 v16, 0xba79, v7
	v_fma_f16 v3, v23, s7, v3
	v_fma_f16 v5, v27, s0, v5
	;; [unrolled: 1-line block ×3, first 2 shown]
	v_mul_f16_e32 v12, 0xba79, v12
	v_fma_f16 v3, v50, s6, v3
	v_fma_f16 v5, v51, s6, v5
	v_fma_f16 v7, v7, s7, v12
	v_sub_f16_e32 v12, v58, v18
	v_sub_f16_e32 v1, v14, v1
	v_add_f16_e32 v14, v3, v16
	v_add_f16_e32 v18, v5, v7
	v_pack_b32_f16 v21, v14, v18
	v_pack_b32_f16 v22, v12, v1
	ds_write2_b64 v134, v[21:22], v[9:10] offset0:2 offset1:3
	v_add_f16_e32 v9, v11, v17
	v_fma_f16 v12, v9, -0.5, v13
	v_lshrrev_b32_e32 v14, 16, v13
	v_add_f16_e32 v9, v13, v11
	v_add_f16_e32 v9, v9, v15
	v_add_f16_sdwa v10, v14, v11 dst_sel:DWORD dst_unused:UNUSED_PAD src0_sel:DWORD src1_sel:WORD_1
	v_add_f16_sdwa v10, v10, v15 dst_sel:DWORD dst_unused:UNUSED_PAD src0_sel:DWORD src1_sel:WORD_1
	v_add_f16_e32 v9, v9, v19
	v_add_f16_e32 v1, v15, v19
	v_add_f16_sdwa v10, v10, v19 dst_sel:DWORD dst_unused:UNUSED_PAD src0_sel:DWORD src1_sel:WORD_1
	v_add_f16_e32 v41, v9, v17
	v_sub_f16_e32 v9, v20, v47
	v_sub_f16_e32 v3, v3, v16
	;; [unrolled: 1-line block ×4, first 2 shown]
	v_fma_f16 v1, v1, -0.5, v13
	v_sub_f16_sdwa v18, v15, v19 dst_sel:DWORD dst_unused:UNUSED_PAD src0_sel:WORD_1 src1_sel:WORD_1
	v_sub_f16_e32 v13, v11, v15
	v_sub_f16_e32 v21, v15, v11
	v_add_f16_sdwa v22, v15, v19 dst_sel:DWORD dst_unused:UNUSED_PAD src0_sel:WORD_1 src1_sel:WORD_1
	v_sub_f16_e32 v23, v15, v19
	v_sub_f16_sdwa v25, v11, v15 dst_sel:DWORD dst_unused:UNUSED_PAD src0_sel:WORD_1 src1_sel:WORD_1
	v_sub_f16_sdwa v15, v15, v11 dst_sel:DWORD dst_unused:UNUSED_PAD src0_sel:WORD_1 src1_sel:WORD_1
	v_sub_f16_sdwa v26, v11, v17 dst_sel:DWORD dst_unused:UNUSED_PAD src0_sel:WORD_1 src1_sel:WORD_1
	v_sub_f16_e32 v27, v11, v17
	v_add_f16_sdwa v11, v11, v17 dst_sel:DWORD dst_unused:UNUSED_PAD src0_sel:WORD_1 src1_sel:WORD_1
	v_sub_f16_e32 v28, v17, v19
	v_sub_f16_e32 v29, v19, v17
	v_sub_f16_sdwa v40, v17, v19 dst_sel:DWORD dst_unused:UNUSED_PAD src0_sel:WORD_1 src1_sel:WORD_1
	v_sub_f16_sdwa v19, v19, v17 dst_sel:DWORD dst_unused:UNUSED_PAD src0_sel:WORD_1 src1_sel:WORD_1
	v_add_f16_sdwa v17, v10, v17 dst_sel:DWORD dst_unused:UNUSED_PAD src0_sel:DWORD src1_sel:WORD_1
	v_pack_b32_f16 v10, v3, v5
	v_pack_b32_f16 v9, v9, v16
	ds_write_b64 v134, v[9:10] offset:32
	v_fma_f16 v5, v18, s12, v12
	v_fma_f16 v7, v18, s1, v12
	v_fma_f16 v9, v11, -0.5, v14
	v_add_f16_e32 v3, v21, v29
	v_fma_f16 v5, v26, s0, v5
	v_fma_f16 v7, v26, s7, v7
	;; [unrolled: 1-line block ×6, first 2 shown]
	v_add_f16_e32 v7, v15, v19
	v_fma_f16 v10, v27, s7, v10
	v_fma_f16 v9, v27, s0, v9
	;; [unrolled: 1-line block ×4, first 2 shown]
	v_sub_f16_e32 v9, v34, v32
	v_sub_f16_e32 v10, v36, v38
	v_add_f16_e32 v9, v9, v10
	v_add_f16_e32 v10, v32, v38
	v_fma_f16 v10, v10, -0.5, v30
	v_sub_f16_sdwa v19, v34, v36 dst_sel:DWORD dst_unused:UNUSED_PAD src0_sel:WORD_1 src1_sel:WORD_1
	v_sub_f16_sdwa v16, v32, v38 dst_sel:DWORD dst_unused:UNUSED_PAD src0_sel:WORD_1 src1_sel:WORD_1
	v_fma_f16 v11, v19, s12, v10
	v_fma_f16 v10, v19, s1, v10
	;; [unrolled: 1-line block ×6, first 2 shown]
	v_sub_f16_sdwa v10, v34, v32 dst_sel:DWORD dst_unused:UNUSED_PAD src0_sel:WORD_1 src1_sel:WORD_1
	v_sub_f16_sdwa v12, v36, v38 dst_sel:DWORD dst_unused:UNUSED_PAD src0_sel:WORD_1 src1_sel:WORD_1
	v_add_f16_e32 v10, v10, v12
	v_lshrrev_b32_e32 v12, 16, v30
	v_add_f16_sdwa v20, v32, v38 dst_sel:DWORD dst_unused:UNUSED_PAD src0_sel:WORD_1 src1_sel:WORD_1
	v_fma_f16 v20, v20, -0.5, v12
	v_sub_f16_e32 v24, v34, v36
	v_sub_f16_e32 v21, v32, v38
	v_fma_f16 v29, v24, s1, v20
	v_fma_f16 v29, v21, s7, v29
	v_fma_f16 v20, v24, s12, v20
	v_fma_f16 v29, v10, s6, v29
	v_fma_f16 v20, v21, s0, v20
	v_fma_f16 v10, v10, s6, v20
	v_mul_f16_e32 v20, 0x3b9c, v29
	v_fma_f16 v20, v11, s6, v20
	v_mul_f16_e32 v11, 0xbb9c, v11
	v_fma_f16 v29, v29, s6, v11
	;; [unrolled: 2-line block ×4, first 2 shown]
	v_add_f16_e32 v9, v3, v42
	v_add_f16_e32 v10, v7, v43
	v_pack_b32_f16 v11, v9, v10
	v_add_f16_e32 v9, v5, v20
	v_add_f16_e32 v10, v15, v29
	v_pack_b32_f16 v10, v9, v10
	v_add_f16_e32 v28, v13, v28
	v_sub_f16_e32 v9, v32, v34
	v_sub_f16_e32 v13, v38, v36
	v_fma_f16 v14, v22, -0.5, v14
	v_add_f16_e32 v22, v25, v40
	v_add_f16_e32 v25, v9, v13
	v_sub_f16_sdwa v9, v32, v34 dst_sel:DWORD dst_unused:UNUSED_PAD src0_sel:WORD_1 src1_sel:WORD_1
	v_sub_f16_sdwa v13, v38, v36 dst_sel:DWORD dst_unused:UNUSED_PAD src0_sel:WORD_1 src1_sel:WORD_1
	v_add_f16_e32 v40, v9, v13
	v_add_f16_e32 v9, v34, v36
	v_fma_f16 v44, v9, -0.5, v30
	v_add_f16_sdwa v13, v34, v36 dst_sel:DWORD dst_unused:UNUSED_PAD src0_sel:WORD_1 src1_sel:WORD_1
	v_fma_f16 v9, v16, s1, v44
	v_fma_f16 v45, v13, -0.5, v12
	v_fma_f16 v9, v19, s0, v9
	v_fma_f16 v13, v21, s12, v45
	;; [unrolled: 1-line block ×5, first 2 shown]
	v_mul_f16_e32 v46, 0x3a79, v9
	v_mul_f16_e32 v9, 0xb8b4, v9
	v_fma_f16 v47, v13, s13, v9
	v_fma_f16 v9, v26, s1, v1
	;; [unrolled: 1-line block ×7, first 2 shown]
	v_add_f16_e32 v9, v30, v32
	v_add_f16_e32 v9, v9, v34
	;; [unrolled: 1-line block ×4, first 2 shown]
	v_add_f16_sdwa v9, v12, v32 dst_sel:DWORD dst_unused:UNUSED_PAD src0_sel:DWORD src1_sel:WORD_1
	v_add_f16_sdwa v9, v9, v34 dst_sel:DWORD dst_unused:UNUSED_PAD src0_sel:DWORD src1_sel:WORD_1
	v_fma_f16 v46, v13, s0, v46
	v_add_f16_sdwa v9, v9, v36 dst_sel:DWORD dst_unused:UNUSED_PAD src0_sel:DWORD src1_sel:WORD_1
	v_add_f16_sdwa v32, v9, v38 dst_sel:DWORD dst_unused:UNUSED_PAD src0_sel:DWORD src1_sel:WORD_1
	v_add_f16_e32 v9, v49, v46
	v_add_f16_e32 v12, v50, v47
	v_pack_b32_f16 v13, v9, v12
	v_add_f16_e32 v9, v41, v30
	v_add_f16_e32 v12, v17, v32
	v_pack_b32_f16 v12, v9, v12
	v_add_co_u32_e32 v9, vcc, s16, v119
	v_mul_u32_u24_e32 v34, 10, v9
	v_lshlrev_b32_e32 v135, 2, v34
	ds_write2_b64 v135, v[12:13], v[10:11] offset1:1
	v_sub_f16_e32 v10, v49, v46
	v_sub_f16_e32 v5, v5, v20
	;; [unrolled: 1-line block ×4, first 2 shown]
	v_pack_b32_f16 v10, v10, v11
	v_pack_b32_f16 v11, v5, v12
	v_fma_f16 v12, v16, s12, v44
	v_fma_f16 v12, v19, s7, v12
	;; [unrolled: 1-line block ×8, first 2 shown]
	v_mul_f16_e32 v14, 0xba79, v12
	v_fma_f16 v1, v18, s7, v1
	v_fma_f16 v5, v23, s0, v5
	;; [unrolled: 1-line block ×3, first 2 shown]
	v_mul_f16_e32 v13, 0xba79, v13
	v_fma_f16 v1, v28, s6, v1
	v_fma_f16 v5, v22, s6, v5
	;; [unrolled: 1-line block ×3, first 2 shown]
	v_sub_f16_e32 v13, v41, v30
	v_sub_f16_e32 v16, v17, v32
	v_add_f16_e32 v12, v1, v14
	v_add_f16_e32 v17, v5, v15
	v_pack_b32_f16 v12, v12, v17
	v_pack_b32_f16 v13, v13, v16
	ds_write2_b64 v135, v[12:13], v[10:11] offset0:2 offset1:3
	v_add_f16_e32 v10, v2, v4
	v_add_f16_e32 v11, v0, v6
	v_fma_f16 v10, v10, -0.5, v8
	v_fma_f16 v11, v11, -0.5, v8
	v_lshrrev_b32_e32 v12, 16, v8
	v_add_f16_e32 v8, v8, v0
	v_add_f16_e32 v8, v8, v2
	v_add_f16_sdwa v13, v12, v0 dst_sel:DWORD dst_unused:UNUSED_PAD src0_sel:DWORD src1_sel:WORD_1
	v_add_f16_sdwa v13, v13, v2 dst_sel:DWORD dst_unused:UNUSED_PAD src0_sel:DWORD src1_sel:WORD_1
	v_sub_f16_sdwa v16, v2, v4 dst_sel:DWORD dst_unused:UNUSED_PAD src0_sel:WORD_1 src1_sel:WORD_1
	v_sub_f16_e32 v17, v0, v2
	v_sub_f16_e32 v18, v2, v0
	v_add_f16_sdwa v19, v2, v4 dst_sel:DWORD dst_unused:UNUSED_PAD src0_sel:WORD_1 src1_sel:WORD_1
	v_sub_f16_e32 v20, v2, v4
	v_sub_f16_sdwa v21, v0, v2 dst_sel:DWORD dst_unused:UNUSED_PAD src0_sel:WORD_1 src1_sel:WORD_1
	v_sub_f16_sdwa v2, v2, v0 dst_sel:DWORD dst_unused:UNUSED_PAD src0_sel:WORD_1 src1_sel:WORD_1
	;; [unrolled: 1-line block ×3, first 2 shown]
	v_sub_f16_e32 v23, v0, v6
	v_add_f16_sdwa v24, v0, v6 dst_sel:DWORD dst_unused:UNUSED_PAD src0_sel:WORD_1 src1_sel:WORD_1
	v_add_f16_e32 v0, v8, v4
	v_add_f16_e32 v27, v0, v6
	;; [unrolled: 1-line block ×3, first 2 shown]
	v_add_f16_sdwa v8, v13, v4 dst_sel:DWORD dst_unused:UNUSED_PAD src0_sel:DWORD src1_sel:WORD_1
	v_fma_f16 v28, v0, -0.5, v31
	v_add_f16_e32 v0, v33, v39
	v_sub_f16_e32 v13, v6, v4
	v_sub_f16_e32 v25, v4, v6
	v_sub_f16_sdwa v26, v6, v4 dst_sel:DWORD dst_unused:UNUSED_PAD src0_sel:WORD_1 src1_sel:WORD_1
	v_sub_f16_sdwa v4, v4, v6 dst_sel:DWORD dst_unused:UNUSED_PAD src0_sel:WORD_1 src1_sel:WORD_1
	v_add_f16_sdwa v6, v8, v6 dst_sel:DWORD dst_unused:UNUSED_PAD src0_sel:DWORD src1_sel:WORD_1
	v_fma_f16 v8, v0, -0.5, v31
	v_add_f16_e32 v0, v31, v33
	v_add_f16_e32 v0, v0, v35
	;; [unrolled: 1-line block ×4, first 2 shown]
	v_sub_f16_e32 v0, v3, v42
	v_sub_f16_e32 v1, v1, v14
	;; [unrolled: 1-line block ×4, first 2 shown]
	v_pack_b32_f16 v1, v1, v5
	v_pack_b32_f16 v0, v0, v3
	ds_write_b64 v135, v[0:1] offset:32
	v_fma_f16 v1, v16, s12, v11
	v_add_f16_e32 v0, v18, v25
	v_fma_f16 v1, v22, s0, v1
	v_fma_f16 v5, v0, s6, v1
	;; [unrolled: 1-line block ×4, first 2 shown]
	v_lshrrev_b32_e32 v29, 16, v31
	v_fma_f16 v7, v0, s6, v1
	v_fma_f16 v1, v24, -0.5, v12
	v_add_f16_sdwa v30, v29, v33 dst_sel:DWORD dst_unused:UNUSED_PAD src0_sel:DWORD src1_sel:WORD_1
	v_add_f16_e32 v0, v2, v4
	v_fma_f16 v2, v20, s1, v1
	v_fma_f16 v1, v20, s12, v1
	v_add_f16_sdwa v30, v30, v35 dst_sel:DWORD dst_unused:UNUSED_PAD src0_sel:DWORD src1_sel:WORD_1
	v_sub_f16_sdwa v31, v35, v37 dst_sel:DWORD dst_unused:UNUSED_PAD src0_sel:WORD_1 src1_sel:WORD_1
	v_sub_f16_e32 v32, v33, v35
	v_sub_f16_e32 v34, v35, v33
	v_add_f16_sdwa v36, v35, v37 dst_sel:DWORD dst_unused:UNUSED_PAD src0_sel:WORD_1 src1_sel:WORD_1
	v_sub_f16_e32 v38, v35, v37
	v_sub_f16_sdwa v40, v33, v35 dst_sel:DWORD dst_unused:UNUSED_PAD src0_sel:WORD_1 src1_sel:WORD_1
	v_sub_f16_sdwa v35, v35, v33 dst_sel:DWORD dst_unused:UNUSED_PAD src0_sel:WORD_1 src1_sel:WORD_1
	;; [unrolled: 1-line block ×3, first 2 shown]
	v_sub_f16_e32 v44, v33, v39
	v_add_f16_sdwa v33, v33, v39 dst_sel:DWORD dst_unused:UNUSED_PAD src0_sel:WORD_1 src1_sel:WORD_1
	v_fma_f16 v2, v23, s7, v2
	v_fma_f16 v1, v23, s0, v1
	v_sub_f16_e32 v46, v37, v39
	v_fma_f16 v4, v0, s6, v2
	v_fma_f16 v11, v0, s6, v1
	v_fma_f16 v1, v31, s12, v8
	v_fma_f16 v2, v31, s1, v8
	v_fma_f16 v3, v33, -0.5, v29
	v_add_f16_sdwa v30, v30, v37 dst_sel:DWORD dst_unused:UNUSED_PAD src0_sel:DWORD src1_sel:WORD_1
	v_sub_f16_e32 v45, v39, v37
	v_sub_f16_sdwa v47, v39, v37 dst_sel:DWORD dst_unused:UNUSED_PAD src0_sel:WORD_1 src1_sel:WORD_1
	v_sub_f16_sdwa v37, v37, v39 dst_sel:DWORD dst_unused:UNUSED_PAD src0_sel:WORD_1 src1_sel:WORD_1
	v_add_f16_e32 v0, v34, v46
	v_fma_f16 v1, v41, s0, v1
	v_fma_f16 v2, v41, s7, v2
	;; [unrolled: 1-line block ×5, first 2 shown]
	v_add_f16_e32 v2, v35, v37
	v_fma_f16 v8, v44, s7, v8
	v_fma_f16 v3, v38, s12, v3
	;; [unrolled: 1-line block ×5, first 2 shown]
	v_mul_f16_e32 v3, 0x3b9c, v8
	v_fma_f16 v14, v1, s6, v3
	v_mul_f16_e32 v1, 0xbb9c, v1
	v_fma_f16 v15, v8, s6, v1
	v_mul_f16_e32 v1, 0xb4f2, v0
	v_fma_f16 v18, v2, s1, v1
	v_mul_f16_e32 v1, 0xb4f2, v2
	v_fma_f16 v24, v0, s12, v1
	v_add_f16_e32 v0, v7, v18
	v_add_f16_e32 v1, v11, v24
	v_pack_b32_f16 v1, v0, v1
	v_add_f16_e32 v0, v5, v14
	v_add_f16_e32 v2, v4, v15
	v_pack_b32_f16 v0, v0, v2
	v_add_f16_e32 v13, v17, v13
	v_add_f16_e32 v17, v21, v26
	v_fma_f16 v21, v36, -0.5, v29
	v_fma_f16 v2, v41, s1, v28
	v_fma_f16 v12, v19, -0.5, v12
	v_add_f16_e32 v19, v32, v45
	v_fma_f16 v2, v31, s0, v2
	v_fma_f16 v3, v44, s12, v21
	v_add_f16_e32 v25, v40, v47
	v_fma_f16 v2, v19, s6, v2
	v_fma_f16 v3, v38, s7, v3
	;; [unrolled: 1-line block ×3, first 2 shown]
	v_mul_f16_e32 v8, 0x3a79, v2
	v_mul_f16_e32 v2, 0xb8b4, v2
	v_fma_f16 v29, v3, s13, v2
	v_fma_f16 v2, v22, s1, v10
	v_fma_f16 v2, v16, s0, v2
	v_fma_f16 v32, v13, s6, v2
	v_fma_f16 v2, v23, s12, v12
	v_fma_f16 v2, v20, s7, v2
	v_fma_f16 v26, v3, s0, v8
	v_fma_f16 v33, v17, s6, v2
	v_add_f16_sdwa v30, v30, v39 dst_sel:DWORD dst_unused:UNUSED_PAD src0_sel:DWORD src1_sel:WORD_1
	v_add_f16_e32 v2, v32, v26
	v_add_f16_e32 v3, v33, v29
	v_pack_b32_f16 v3, v2, v3
	v_add_f16_e32 v2, v27, v49
	v_add_f16_e32 v8, v6, v30
	v_pack_b32_f16 v2, v2, v8
	v_add_co_u32_e32 v8, vcc, s14, v119
	v_mul_u32_u24_e32 v34, 10, v8
	v_lshlrev_b32_e32 v136, 2, v34
	ds_write2_b64 v136, v[2:3], v[0:1] offset1:1
	v_fma_f16 v2, v41, s12, v28
	v_fma_f16 v2, v31, s7, v2
	v_fma_f16 v3, v44, s1, v21
	v_fma_f16 v2, v19, s6, v2
	v_fma_f16 v3, v38, s0, v3
	v_fma_f16 v0, v22, s12, v10
	v_fma_f16 v1, v23, s1, v12
	v_fma_f16 v3, v25, s6, v3
	v_mul_f16_e32 v10, 0xba79, v2
	v_fma_f16 v0, v16, s7, v0
	v_fma_f16 v1, v20, s0, v1
	;; [unrolled: 1-line block ×3, first 2 shown]
	v_mul_f16_e32 v3, 0xba79, v3
	v_fma_f16 v0, v13, s6, v0
	v_fma_f16 v1, v17, s6, v1
	;; [unrolled: 1-line block ×3, first 2 shown]
	v_sub_f16_e32 v3, v27, v49
	v_sub_f16_e32 v12, v32, v26
	;; [unrolled: 1-line block ×3, first 2 shown]
	v_add_f16_e32 v13, v0, v10
	v_sub_f16_e32 v10, v0, v10
	v_sub_f16_e32 v6, v6, v30
	;; [unrolled: 1-line block ×4, first 2 shown]
	v_add_f16_e32 v14, v1, v2
	v_sub_f16_e32 v7, v7, v18
	v_sub_f16_e32 v11, v11, v24
	;; [unrolled: 1-line block ×3, first 2 shown]
	v_pack_b32_f16 v0, v12, v0
	v_pack_b32_f16 v1, v5, v4
	;; [unrolled: 1-line block ×4, first 2 shown]
	ds_write2_b64 v136, v[2:3], v[0:1] offset0:2 offset1:3
	v_pack_b32_f16 v1, v10, v15
	v_pack_b32_f16 v0, v7, v11
	s_movk_i32 s14, 0xcd
	ds_write_b64 v136, v[0:1] offset:32
	v_mul_lo_u16_sdwa v0, v119, s14 dst_sel:DWORD dst_unused:UNUSED_PAD src0_sel:BYTE_0 src1_sel:DWORD
	v_lshrrev_b16_e32 v10, 11, v0
	v_mul_lo_u16_e32 v0, 10, v10
	v_sub_u16_e32 v0, v119, v0
	v_and_b32_e32 v11, 0xff, v0
	v_lshlrev_b32_e32 v0, 3, v11
	s_waitcnt lgkmcnt(0)
	s_barrier
	global_load_dwordx2 v[49:50], v0, s[2:3]
	v_mul_lo_u16_sdwa v7, v9, s14 dst_sel:DWORD dst_unused:UNUSED_PAD src0_sel:BYTE_0 src1_sel:DWORD
	v_lshrrev_b16_e32 v34, 11, v7
	v_mul_lo_u16_e32 v7, 10, v34
	s_movk_i32 s16, 0x12c
	v_sub_u16_e32 v7, v9, v7
	s_mov_b32 s14, 0xcccd
	v_add_co_u32_e32 v0, vcc, s16, v119
	v_and_b32_e32 v35, 0xff, v7
	v_mul_u32_u24_sdwa v7, v8, s14 dst_sel:DWORD dst_unused:UNUSED_PAD src0_sel:WORD_0 src1_sel:DWORD
	v_add_co_u32_e32 v1, vcc, s15, v119
	s_movk_i32 s15, 0x384
	v_lshrrev_b32_e32 v36, 19, v7
	v_mul_u32_u24_sdwa v7, v0, s14 dst_sel:DWORD dst_unused:UNUSED_PAD src0_sel:WORD_0 src1_sel:DWORD
	v_add_co_u32_e32 v2, vcc, s15, v119
	s_movk_i32 s15, 0x190
	v_lshrrev_b32_e32 v37, 19, v7
	v_add_co_u32_e32 v3, vcc, s15, v119
	v_mul_lo_u16_e32 v7, 10, v37
	s_movk_i32 s15, 0x2bc
	v_sub_u16_e32 v38, v0, v7
	v_mul_u32_u24_sdwa v0, v3, s14 dst_sel:DWORD dst_unused:UNUSED_PAD src0_sel:WORD_0 src1_sel:DWORD
	v_add_co_u32_e32 v4, vcc, s15, v119
	s_movk_i32 s15, 0x1f4
	v_lshrrev_b32_e32 v39, 19, v0
	v_add_co_u32_e32 v5, vcc, s15, v119
	v_mul_lo_u16_e32 v0, 10, v39
	v_sub_u16_e32 v40, v3, v0
	v_mul_u32_u24_sdwa v0, v5, s14 dst_sel:DWORD dst_unused:UNUSED_PAD src0_sel:WORD_0 src1_sel:DWORD
	v_lshrrev_b32_e32 v41, 19, v0
	v_mul_lo_u16_e32 v0, 10, v41
	v_sub_u16_e32 v42, v5, v0
	v_mul_u32_u24_sdwa v0, v1, s14 dst_sel:DWORD dst_unused:UNUSED_PAD src0_sel:WORD_0 src1_sel:DWORD
	v_lshrrev_b32_e32 v43, 19, v0
	v_mul_lo_u16_e32 v0, 10, v43
	v_sub_u16_e32 v44, v1, v0
	v_mul_u32_u24_sdwa v0, v4, s14 dst_sel:DWORD dst_unused:UNUSED_PAD src0_sel:WORD_0 src1_sel:DWORD
	s_movk_i32 s15, 0x320
	v_lshrrev_b32_e32 v45, 19, v0
	v_add_co_u32_e32 v6, vcc, s15, v119
	v_mul_lo_u16_e32 v0, 10, v45
	v_sub_u16_e32 v46, v4, v0
	v_mul_u32_u24_sdwa v0, v6, s14 dst_sel:DWORD dst_unused:UNUSED_PAD src0_sel:WORD_0 src1_sel:DWORD
	v_lshrrev_b32_e32 v47, 19, v0
	v_mul_lo_u16_e32 v0, 10, v47
	v_sub_u16_e32 v71, v6, v0
	v_lshlrev_b32_e32 v0, 3, v35
	global_load_dwordx2 v[55:56], v0, s[2:3]
	v_mul_u32_u24_sdwa v0, v2, s14 dst_sel:DWORD dst_unused:UNUSED_PAD src0_sel:WORD_0 src1_sel:DWORD
	v_lshrrev_b32_e32 v0, 19, v0
	v_mul_lo_u16_e32 v1, 10, v0
	v_sub_u16_e32 v1, v2, v1
	v_mul_lo_u16_e32 v2, 10, v36
	v_sub_u16_e32 v72, v8, v2
	v_lshlrev_b16_e32 v4, 1, v72
	v_lshlrev_b32_e32 v6, 2, v4
	v_lshlrev_b16_e32 v4, 1, v38
	ds_read2_b32 v[2:3], v107 offset0:104 offset1:204
	v_lshlrev_b32_e32 v7, 2, v4
	ds_read2_b32 v[4:5], v122 offset0:80 offset1:180
	global_load_dwordx2 v[53:54], v6, s[2:3]
	global_load_dwordx2 v[51:52], v7, s[2:3]
	ds_read2_b32 v[6:7], v123 offset1:100
	s_waitcnt lgkmcnt(2)
	v_lshrrev_b32_e32 v12, 16, v2
	s_movk_i32 s14, 0x3aee
	s_waitcnt lgkmcnt(1)
	v_lshrrev_b32_e32 v14, 16, v4
	s_mov_b32 s15, 0xbaee
	s_waitcnt lgkmcnt(0)
	v_lshrrev_b32_e32 v16, 16, v6
	v_mad_legacy_u16 v0, v0, 30, v1
	v_lshlrev_b32_e32 v150, 2, v0
	s_waitcnt vmcnt(3)
	v_mul_f16_sdwa v13, v2, v49 dst_sel:DWORD dst_unused:UNUSED_PAD src0_sel:DWORD src1_sel:WORD_1
	v_fma_f16 v13, v12, v49, v13
	v_mul_f16_sdwa v15, v4, v50 dst_sel:DWORD dst_unused:UNUSED_PAD src0_sel:DWORD src1_sel:WORD_1
	v_mul_f16_sdwa v12, v12, v49 dst_sel:DWORD dst_unused:UNUSED_PAD src0_sel:DWORD src1_sel:WORD_1
	v_fma_f16 v15, v14, v50, v15
	v_fma_f16 v2, v2, v49, -v12
	v_mul_f16_sdwa v12, v14, v50 dst_sel:DWORD dst_unused:UNUSED_PAD src0_sel:DWORD src1_sel:WORD_1
	v_add_f16_e32 v17, v16, v13
	v_sub_f16_e32 v73, v13, v15
	v_add_f16_e32 v13, v13, v15
	v_fma_f16 v4, v4, v50, -v12
	v_fma_f16 v74, v13, -0.5, v16
	v_add_f16_e32 v12, v6, v2
	v_add_f16_e32 v13, v2, v4
	;; [unrolled: 1-line block ×3, first 2 shown]
	v_sub_f16_e32 v2, v2, v4
	v_mul_u32_u24_e32 v4, 30, v10
	v_fma_f16 v6, v13, -0.5, v6
	v_add_lshl_u32 v138, v4, v11, 2
	v_fma_f16 v10, v73, s14, v6
	v_fma_f16 v11, v2, s15, v74
	v_add_f16_e32 v17, v17, v15
	v_pack_b32_f16 v75, v10, v11
	v_lshlrev_b16_e32 v10, 1, v40
	v_pack_b32_f16 v4, v12, v17
	v_lshlrev_b32_e32 v10, 2, v10
	v_lshlrev_b16_e32 v11, 1, v42
	v_lshlrev_b16_e32 v12, 1, v44
	;; [unrolled: 1-line block ×5, first 2 shown]
	v_lshlrev_b32_e32 v11, 2, v11
	v_lshlrev_b32_e32 v12, 2, v12
	;; [unrolled: 1-line block ×5, first 2 shown]
	global_load_dwordx2 v[67:68], v10, s[2:3]
	global_load_dwordx2 v[65:66], v11, s[2:3]
	;; [unrolled: 1-line block ×6, first 2 shown]
	ds_read2_b32 v[10:11], v131 offset0:72 offset1:172
	ds_read2_b32 v[12:13], v126 offset0:48 offset1:148
	;; [unrolled: 1-line block ×12, first 2 shown]
	s_waitcnt vmcnt(0) lgkmcnt(0)
	s_barrier
	ds_write2_b32 v138, v4, v75 offset1:10
	v_lshrrev_b32_e32 v4, 16, v3
	v_fma_f16 v2, v2, s14, v74
	v_mul_f16_sdwa v75, v4, v55 dst_sel:DWORD dst_unused:UNUSED_PAD src0_sel:DWORD src1_sel:WORD_1
	v_fma_f16 v75, v3, v55, -v75
	v_mul_f16_sdwa v3, v3, v55 dst_sel:DWORD dst_unused:UNUSED_PAD src0_sel:DWORD src1_sel:WORD_1
	v_fma_f16 v3, v4, v55, v3
	v_lshrrev_b32_e32 v4, 16, v5
	v_mul_f16_sdwa v76, v4, v56 dst_sel:DWORD dst_unused:UNUSED_PAD src0_sel:DWORD src1_sel:WORD_1
	v_fma_f16 v76, v5, v56, -v76
	v_mul_f16_sdwa v5, v5, v56 dst_sel:DWORD dst_unused:UNUSED_PAD src0_sel:DWORD src1_sel:WORD_1
	v_fma_f16 v4, v4, v56, v5
	v_fma_f16 v5, v73, s15, v6
	v_add_f16_e32 v6, v75, v76
	v_lshrrev_b32_e32 v73, 16, v7
	v_fma_f16 v6, v6, -0.5, v7
	v_add_f16_e32 v7, v7, v75
	v_add_f16_e32 v74, v73, v3
	v_sub_f16_e32 v77, v3, v4
	v_add_f16_e32 v3, v3, v4
	v_pack_b32_f16 v2, v5, v2
	v_add_f16_e32 v74, v74, v4
	v_fma_f16 v3, v3, -0.5, v73
	v_add_f16_e32 v4, v7, v76
	v_sub_f16_e32 v7, v75, v76
	ds_write_b32 v138, v2 offset:80
	v_mul_u32_u24_e32 v2, 30, v34
	v_add_lshl_u32 v140, v2, v35, 2
	v_pack_b32_f16 v2, v4, v74
	v_fma_f16 v4, v77, s14, v6
	v_fma_f16 v5, v7, s15, v3
	v_pack_b32_f16 v4, v4, v5
	ds_write2_b32 v140, v2, v4 offset1:10
	v_fma_f16 v2, v77, s15, v6
	v_fma_f16 v3, v7, s14, v3
	v_lshrrev_b32_e32 v4, 16, v12
	v_mul_f16_sdwa v5, v12, v53 dst_sel:DWORD dst_unused:UNUSED_PAD src0_sel:DWORD src1_sel:WORD_1
	v_lshrrev_b32_e32 v6, 16, v14
	v_mul_f16_sdwa v7, v14, v54 dst_sel:DWORD dst_unused:UNUSED_PAD src0_sel:DWORD src1_sel:WORD_1
	v_fma_f16 v5, v4, v53, v5
	v_fma_f16 v7, v6, v54, v7
	v_lshrrev_b32_e32 v34, 16, v10
	v_mul_f16_sdwa v4, v4, v53 dst_sel:DWORD dst_unused:UNUSED_PAD src0_sel:DWORD src1_sel:WORD_1
	v_mul_f16_sdwa v6, v6, v54 dst_sel:DWORD dst_unused:UNUSED_PAD src0_sel:DWORD src1_sel:WORD_1
	v_add_f16_e32 v35, v34, v5
	v_fma_f16 v4, v12, v53, -v4
	v_fma_f16 v6, v14, v54, -v6
	v_add_f16_e32 v35, v35, v7
	v_sub_f16_e32 v73, v5, v7
	v_add_f16_e32 v5, v5, v7
	v_add_f16_e32 v7, v10, v4
	;; [unrolled: 1-line block ×3, first 2 shown]
	v_fma_f16 v5, v5, -0.5, v34
	v_add_f16_e32 v7, v7, v6
	v_sub_f16_e32 v4, v4, v6
	v_pack_b32_f16 v2, v2, v3
	v_fma_f16 v6, v12, -0.5, v10
	ds_write_b32 v140, v2 offset:80
	v_mad_legacy_u16 v2, v36, 30, v72
	v_pack_b32_f16 v3, v7, v35
	v_fma_f16 v7, v73, s14, v6
	v_fma_f16 v10, v4, s15, v5
	v_pack_b32_f16 v7, v7, v10
	v_lshlrev_b32_e32 v141, 2, v2
	ds_write2_b32 v141, v3, v7 offset1:10
	v_lshrrev_b32_e32 v2, 16, v13
	v_mul_f16_sdwa v7, v13, v51 dst_sel:DWORD dst_unused:UNUSED_PAD src0_sel:DWORD src1_sel:WORD_1
	v_mul_f16_sdwa v3, v2, v51 dst_sel:DWORD dst_unused:UNUSED_PAD src0_sel:DWORD src1_sel:WORD_1
	v_fma_f16 v2, v2, v51, v7
	v_lshrrev_b32_e32 v7, 16, v15
	v_mul_f16_sdwa v10, v7, v52 dst_sel:DWORD dst_unused:UNUSED_PAD src0_sel:DWORD src1_sel:WORD_1
	v_fma_f16 v3, v13, v51, -v3
	v_fma_f16 v10, v15, v52, -v10
	v_mul_f16_sdwa v12, v15, v52 dst_sel:DWORD dst_unused:UNUSED_PAD src0_sel:DWORD src1_sel:WORD_1
	v_fma_f16 v7, v7, v52, v12
	v_fma_f16 v4, v4, s14, v5
	v_add_f16_e32 v5, v3, v10
	v_lshrrev_b32_e32 v12, 16, v11
	v_fma_f16 v6, v73, s15, v6
	v_fma_f16 v5, v5, -0.5, v11
	v_add_f16_e32 v11, v11, v3
	v_add_f16_e32 v13, v12, v2
	v_sub_f16_e32 v14, v2, v7
	v_add_f16_e32 v2, v2, v7
	v_add_f16_e32 v13, v13, v7
	v_fma_f16 v2, v2, -0.5, v12
	v_add_f16_e32 v7, v11, v10
	v_sub_f16_e32 v3, v3, v10
	v_pack_b32_f16 v4, v6, v4
	ds_write_b32 v141, v4 offset:80
	v_mad_legacy_u16 v4, v37, 30, v38
	v_pack_b32_f16 v6, v7, v13
	v_fma_f16 v7, v14, s14, v5
	v_fma_f16 v10, v3, s15, v2
	v_pack_b32_f16 v7, v7, v10
	v_lshlrev_b32_e32 v142, 2, v4
	ds_write2_b32 v142, v6, v7 offset1:10
	v_fma_f16 v4, v14, s15, v5
	v_fma_f16 v2, v3, s14, v2
	v_lshrrev_b32_e32 v3, 16, v18
	v_mul_f16_sdwa v5, v18, v67 dst_sel:DWORD dst_unused:UNUSED_PAD src0_sel:DWORD src1_sel:WORD_1
	v_lshrrev_b32_e32 v6, 16, v20
	v_mul_f16_sdwa v7, v20, v68 dst_sel:DWORD dst_unused:UNUSED_PAD src0_sel:DWORD src1_sel:WORD_1
	v_fma_f16 v5, v3, v67, v5
	v_fma_f16 v7, v6, v68, v7
	v_lshrrev_b32_e32 v10, 16, v16
	v_mul_f16_sdwa v3, v3, v67 dst_sel:DWORD dst_unused:UNUSED_PAD src0_sel:DWORD src1_sel:WORD_1
	v_mul_f16_sdwa v6, v6, v68 dst_sel:DWORD dst_unused:UNUSED_PAD src0_sel:DWORD src1_sel:WORD_1
	v_add_f16_e32 v11, v10, v5
	v_sub_f16_e32 v12, v5, v7
	v_add_f16_e32 v5, v5, v7
	v_fma_f16 v3, v18, v67, -v3
	v_fma_f16 v6, v20, v68, -v6
	v_add_f16_e32 v11, v11, v7
	v_fma_f16 v5, v5, -0.5, v10
	v_add_f16_e32 v7, v16, v3
	v_add_f16_e32 v10, v3, v6
	;; [unrolled: 1-line block ×3, first 2 shown]
	v_sub_f16_e32 v3, v3, v6
	v_pack_b32_f16 v2, v4, v2
	v_fma_f16 v6, v10, -0.5, v16
	ds_write_b32 v142, v2 offset:80
	v_mad_legacy_u16 v2, v39, 30, v40
	v_pack_b32_f16 v4, v7, v11
	v_fma_f16 v7, v12, s14, v6
	v_fma_f16 v10, v3, s15, v5
	v_pack_b32_f16 v7, v7, v10
	v_lshlrev_b32_e32 v143, 2, v2
	ds_write2_b32 v143, v4, v7 offset1:10
	v_lshrrev_b32_e32 v2, 16, v19
	v_mul_f16_sdwa v7, v19, v65 dst_sel:DWORD dst_unused:UNUSED_PAD src0_sel:DWORD src1_sel:WORD_1
	v_mul_f16_sdwa v4, v2, v65 dst_sel:DWORD dst_unused:UNUSED_PAD src0_sel:DWORD src1_sel:WORD_1
	v_fma_f16 v2, v2, v65, v7
	v_lshrrev_b32_e32 v7, 16, v21
	v_mul_f16_sdwa v10, v7, v66 dst_sel:DWORD dst_unused:UNUSED_PAD src0_sel:DWORD src1_sel:WORD_1
	v_mul_f16_sdwa v11, v21, v66 dst_sel:DWORD dst_unused:UNUSED_PAD src0_sel:DWORD src1_sel:WORD_1
	v_fma_f16 v4, v19, v65, -v4
	v_fma_f16 v10, v21, v66, -v10
	v_fma_f16 v7, v7, v66, v11
	v_lshrrev_b32_e32 v11, 16, v17
	v_fma_f16 v6, v12, s15, v6
	v_fma_f16 v3, v3, s14, v5
	v_add_f16_e32 v5, v4, v10
	v_add_f16_e32 v12, v17, v4
	;; [unrolled: 1-line block ×3, first 2 shown]
	v_sub_f16_e32 v14, v2, v7
	v_add_f16_e32 v2, v2, v7
	v_fma_f16 v5, v5, -0.5, v17
	v_add_f16_e32 v13, v13, v7
	v_fma_f16 v2, v2, -0.5, v11
	v_add_f16_e32 v7, v12, v10
	v_sub_f16_e32 v4, v4, v10
	v_pack_b32_f16 v3, v6, v3
	ds_write_b32 v143, v3 offset:80
	v_mad_legacy_u16 v3, v41, 30, v42
	v_pack_b32_f16 v6, v7, v13
	v_fma_f16 v7, v14, s14, v5
	v_fma_f16 v10, v4, s15, v2
	v_pack_b32_f16 v7, v7, v10
	v_lshlrev_b32_e32 v144, 2, v3
	ds_write2_b32 v144, v6, v7 offset1:10
	v_fma_f16 v3, v14, s15, v5
	v_fma_f16 v2, v4, s14, v2
	v_lshrrev_b32_e32 v4, 16, v24
	v_mul_f16_sdwa v5, v24, v63 dst_sel:DWORD dst_unused:UNUSED_PAD src0_sel:DWORD src1_sel:WORD_1
	v_lshrrev_b32_e32 v6, 16, v26
	v_mul_f16_sdwa v7, v26, v64 dst_sel:DWORD dst_unused:UNUSED_PAD src0_sel:DWORD src1_sel:WORD_1
	v_fma_f16 v5, v4, v63, v5
	v_fma_f16 v7, v6, v64, v7
	v_lshrrev_b32_e32 v10, 16, v22
	v_mul_f16_sdwa v4, v4, v63 dst_sel:DWORD dst_unused:UNUSED_PAD src0_sel:DWORD src1_sel:WORD_1
	v_mul_f16_sdwa v6, v6, v64 dst_sel:DWORD dst_unused:UNUSED_PAD src0_sel:DWORD src1_sel:WORD_1
	v_add_f16_e32 v11, v10, v5
	v_sub_f16_e32 v12, v5, v7
	v_add_f16_e32 v5, v5, v7
	v_fma_f16 v4, v24, v63, -v4
	v_fma_f16 v6, v26, v64, -v6
	v_add_f16_e32 v11, v11, v7
	v_fma_f16 v5, v5, -0.5, v10
	v_add_f16_e32 v7, v22, v4
	v_add_f16_e32 v10, v4, v6
	;; [unrolled: 1-line block ×3, first 2 shown]
	v_sub_f16_e32 v4, v4, v6
	v_pack_b32_f16 v2, v3, v2
	v_fma_f16 v6, v10, -0.5, v22
	ds_write_b32 v144, v2 offset:80
	v_mad_legacy_u16 v2, v43, 30, v44
	v_pack_b32_f16 v3, v7, v11
	v_fma_f16 v7, v12, s14, v6
	v_fma_f16 v10, v4, s15, v5
	v_pack_b32_f16 v7, v7, v10
	v_lshlrev_b32_e32 v145, 2, v2
	ds_write2_b32 v145, v3, v7 offset1:10
	v_lshrrev_b32_e32 v2, 16, v25
	v_mul_f16_sdwa v7, v25, v61 dst_sel:DWORD dst_unused:UNUSED_PAD src0_sel:DWORD src1_sel:WORD_1
	v_mul_f16_sdwa v3, v2, v61 dst_sel:DWORD dst_unused:UNUSED_PAD src0_sel:DWORD src1_sel:WORD_1
	v_fma_f16 v2, v2, v61, v7
	v_lshrrev_b32_e32 v7, 16, v27
	v_mul_f16_sdwa v10, v7, v62 dst_sel:DWORD dst_unused:UNUSED_PAD src0_sel:DWORD src1_sel:WORD_1
	v_mul_f16_sdwa v11, v27, v62 dst_sel:DWORD dst_unused:UNUSED_PAD src0_sel:DWORD src1_sel:WORD_1
	v_fma_f16 v3, v25, v61, -v3
	v_fma_f16 v10, v27, v62, -v10
	v_fma_f16 v7, v7, v62, v11
	v_lshrrev_b32_e32 v11, 16, v23
	v_fma_f16 v6, v12, s15, v6
	v_fma_f16 v4, v4, s14, v5
	v_add_f16_e32 v5, v3, v10
	v_add_f16_e32 v12, v23, v3
	;; [unrolled: 1-line block ×3, first 2 shown]
	v_sub_f16_e32 v14, v2, v7
	v_add_f16_e32 v2, v2, v7
	v_fma_f16 v5, v5, -0.5, v23
	v_add_f16_e32 v13, v13, v7
	v_fma_f16 v2, v2, -0.5, v11
	v_add_f16_e32 v7, v12, v10
	v_sub_f16_e32 v3, v3, v10
	v_pack_b32_f16 v4, v6, v4
	ds_write_b32 v145, v4 offset:80
	v_mad_legacy_u16 v4, v45, 30, v46
	v_pack_b32_f16 v6, v7, v13
	v_fma_f16 v7, v14, s14, v5
	v_fma_f16 v10, v3, s15, v2
	v_pack_b32_f16 v7, v7, v10
	v_lshlrev_b32_e32 v147, 2, v4
	ds_write2_b32 v147, v6, v7 offset1:10
	v_fma_f16 v4, v14, s15, v5
	v_fma_f16 v2, v3, s14, v2
	v_lshrrev_b32_e32 v3, 16, v30
	v_mul_f16_sdwa v5, v30, v59 dst_sel:DWORD dst_unused:UNUSED_PAD src0_sel:DWORD src1_sel:WORD_1
	v_lshrrev_b32_e32 v6, 16, v32
	v_mul_f16_sdwa v7, v32, v60 dst_sel:DWORD dst_unused:UNUSED_PAD src0_sel:DWORD src1_sel:WORD_1
	v_fma_f16 v5, v3, v59, v5
	v_fma_f16 v7, v6, v60, v7
	v_lshrrev_b32_e32 v10, 16, v28
	v_mul_f16_sdwa v3, v3, v59 dst_sel:DWORD dst_unused:UNUSED_PAD src0_sel:DWORD src1_sel:WORD_1
	v_mul_f16_sdwa v6, v6, v60 dst_sel:DWORD dst_unused:UNUSED_PAD src0_sel:DWORD src1_sel:WORD_1
	v_add_f16_e32 v11, v10, v5
	v_sub_f16_e32 v12, v5, v7
	v_add_f16_e32 v5, v5, v7
	v_fma_f16 v3, v30, v59, -v3
	v_fma_f16 v6, v32, v60, -v6
	v_add_f16_e32 v11, v11, v7
	v_fma_f16 v5, v5, -0.5, v10
	v_add_f16_e32 v7, v28, v3
	v_add_f16_e32 v10, v3, v6
	;; [unrolled: 1-line block ×3, first 2 shown]
	v_sub_f16_e32 v3, v3, v6
	v_pack_b32_f16 v2, v4, v2
	v_fma_f16 v6, v10, -0.5, v28
	ds_write_b32 v147, v2 offset:80
	v_mad_legacy_u16 v2, v47, 30, v71
	v_pack_b32_f16 v4, v7, v11
	v_fma_f16 v7, v12, s14, v6
	v_fma_f16 v10, v3, s15, v5
	v_pack_b32_f16 v7, v7, v10
	v_lshlrev_b32_e32 v148, 2, v2
	ds_write2_b32 v148, v4, v7 offset1:10
	v_lshrrev_b32_e32 v2, 16, v31
	v_mul_f16_sdwa v7, v31, v57 dst_sel:DWORD dst_unused:UNUSED_PAD src0_sel:DWORD src1_sel:WORD_1
	v_mul_f16_sdwa v4, v2, v57 dst_sel:DWORD dst_unused:UNUSED_PAD src0_sel:DWORD src1_sel:WORD_1
	v_fma_f16 v2, v2, v57, v7
	v_lshrrev_b32_e32 v7, 16, v33
	v_mul_f16_sdwa v10, v7, v58 dst_sel:DWORD dst_unused:UNUSED_PAD src0_sel:DWORD src1_sel:WORD_1
	v_mul_f16_sdwa v11, v33, v58 dst_sel:DWORD dst_unused:UNUSED_PAD src0_sel:DWORD src1_sel:WORD_1
	v_fma_f16 v4, v31, v57, -v4
	v_fma_f16 v10, v33, v58, -v10
	v_fma_f16 v7, v7, v58, v11
	v_lshrrev_b32_e32 v11, 16, v29
	v_fma_f16 v6, v12, s15, v6
	v_fma_f16 v3, v3, s14, v5
	v_add_f16_e32 v5, v4, v10
	v_add_f16_e32 v13, v11, v2
	v_sub_f16_e32 v14, v2, v7
	v_add_f16_e32 v2, v2, v7
	v_fma_f16 v5, v5, -0.5, v29
	v_add_f16_e32 v12, v29, v4
	v_fma_f16 v2, v2, -0.5, v11
	v_sub_f16_e32 v4, v4, v10
	v_pack_b32_f16 v3, v6, v3
	v_add_f16_e32 v13, v13, v7
	v_add_f16_e32 v7, v12, v10
	ds_write_b32 v148, v3 offset:80
	v_fma_f16 v3, v14, s14, v5
	v_fma_f16 v6, v4, s15, v2
	v_pack_b32_f16 v1, v7, v13
	v_pack_b32_f16 v3, v3, v6
	ds_write2_b32 v150, v1, v3 offset1:10
	v_fma_f16 v0, v14, s15, v5
	v_fma_f16 v1, v4, s14, v2
	v_pack_b32_f16 v0, v0, v1
	ds_write_b32 v150, v0 offset:80
	v_mul_lo_u16_sdwa v0, v119, s17 dst_sel:DWORD dst_unused:UNUSED_PAD src0_sel:BYTE_0 src1_sel:DWORD
	v_lshrrev_b16_e32 v25, 12, v0
	v_mul_lo_u16_e32 v0, 30, v25
	v_sub_u16_e32 v0, v119, v0
	v_and_b32_e32 v26, 0xff, v0
	v_mad_u64_u32 v[10:11], s[18:19], v26, 36, s[2:3]
	s_waitcnt lgkmcnt(0)
	s_barrier
	global_load_dwordx4 v[4:7], v[10:11], off offset:80
	global_load_dwordx4 v[0:3], v[10:11], off offset:96
	global_load_dword v139, v[10:11], off offset:112
	v_mul_lo_u16_sdwa v10, v9, s17 dst_sel:DWORD dst_unused:UNUSED_PAD src0_sel:BYTE_0 src1_sel:DWORD
	v_lshrrev_b16_e32 v42, 12, v10
	v_mul_lo_u16_e32 v10, 30, v42
	s_mov_b32 s17, 0x8889
	v_sub_u16_e32 v27, v9, v10
	v_mul_u32_u24_sdwa v9, v8, s17 dst_sel:DWORD dst_unused:UNUSED_PAD src0_sel:WORD_0 src1_sel:DWORD
	v_lshrrev_b32_e32 v40, 20, v9
	ds_read2_b32 v[15:16], v128 offset0:88 offset1:188
	v_mul_lo_u16_e32 v9, 30, v40
	v_sub_u16_e32 v41, v8, v9
	ds_read2_b32 v[17:18], v126 offset0:48 offset1:148
	v_mul_lo_u16_e32 v8, 36, v41
	v_mov_b32_e32 v9, s3
	v_add_co_u32_e32 v23, vcc, s2, v8
	ds_read2_b32 v[19:20], v124 offset0:8 offset1:108
	v_addc_co_u32_e32 v24, vcc, 0, v9, vcc
	s_waitcnt lgkmcnt(2)
	v_lshrrev_b32_e32 v8, 16, v15
	ds_read2_b32 v[21:22], v120 offset0:96 offset1:196
	ds_read2_b32 v[76:77], v131 offset0:72 offset1:172
	v_and_b32_e32 v158, 0xff, v27
	v_mad_u64_u32 v[27:28], s[18:19], v158, 36, s[2:3]
	v_mul_u32_u24_e32 v25, 0x12c, v25
	v_add_lshl_u32 v146, v25, v26, 2
	global_load_dwordx4 v[32:35], v[27:28], off offset:80
	v_mul_u32_u24_e32 v42, 0x12c, v42
	v_mad_legacy_u16 v40, v40, s16, v41
	s_waitcnt vmcnt(3)
	v_mul_f16_sdwa v9, v15, v5 dst_sel:DWORD dst_unused:UNUSED_PAD src0_sel:DWORD src1_sel:WORD_1
	v_fma_f16 v43, v8, v5, v9
	v_mul_f16_sdwa v8, v8, v5 dst_sel:DWORD dst_unused:UNUSED_PAD src0_sel:DWORD src1_sel:WORD_1
	v_fma_f16 v45, v15, v5, -v8
	s_waitcnt lgkmcnt(3)
	v_lshrrev_b32_e32 v8, 16, v17
	v_mul_f16_sdwa v9, v17, v7 dst_sel:DWORD dst_unused:UNUSED_PAD src0_sel:DWORD src1_sel:WORD_1
	v_fma_f16 v44, v8, v7, v9
	v_mul_f16_sdwa v8, v8, v7 dst_sel:DWORD dst_unused:UNUSED_PAD src0_sel:DWORD src1_sel:WORD_1
	v_fma_f16 v46, v17, v7, -v8
	s_waitcnt lgkmcnt(2)
	v_lshrrev_b32_e32 v8, 16, v19
	s_waitcnt vmcnt(2)
	v_mul_f16_sdwa v9, v19, v1 dst_sel:DWORD dst_unused:UNUSED_PAD src0_sel:DWORD src1_sel:WORD_1
	v_fma_f16 v17, v8, v1, v9
	v_mul_f16_sdwa v8, v8, v1 dst_sel:DWORD dst_unused:UNUSED_PAD src0_sel:DWORD src1_sel:WORD_1
	v_fma_f16 v47, v19, v1, -v8
	s_waitcnt lgkmcnt(1)
	v_lshrrev_b32_e32 v8, 16, v21
	v_mul_f16_sdwa v9, v21, v3 dst_sel:DWORD dst_unused:UNUSED_PAD src0_sel:DWORD src1_sel:WORD_1
	v_fma_f16 v19, v8, v3, v9
	v_mul_f16_sdwa v8, v8, v3 dst_sel:DWORD dst_unused:UNUSED_PAD src0_sel:DWORD src1_sel:WORD_1
	v_fma_f16 v21, v21, v3, -v8
	v_sub_f16_e32 v10, v45, v46
	v_sub_f16_e32 v11, v21, v47
	ds_read2_b32 v[8:9], v127 offset0:32 offset1:132
	v_add_f16_e32 v71, v10, v11
	v_sub_f16_e32 v10, v43, v44
	v_sub_f16_e32 v11, v19, v17
	v_add_f16_e32 v72, v10, v11
	ds_read2_b32 v[10:11], v125 offset0:120 offset1:220
	s_waitcnt lgkmcnt(1)
	v_lshrrev_b32_e32 v12, 16, v9
	v_mul_f16_sdwa v13, v9, v6 dst_sel:DWORD dst_unused:UNUSED_PAD src0_sel:DWORD src1_sel:WORD_1
	v_fma_f16 v73, v12, v6, v13
	v_mul_f16_sdwa v12, v12, v6 dst_sel:DWORD dst_unused:UNUSED_PAD src0_sel:DWORD src1_sel:WORD_1
	v_fma_f16 v74, v9, v6, -v12
	s_waitcnt lgkmcnt(0)
	v_lshrrev_b32_e32 v14, 16, v11
	ds_read2_b32 v[12:13], v122 offset0:80 offset1:180
	v_mul_f16_sdwa v9, v11, v0 dst_sel:DWORD dst_unused:UNUSED_PAD src0_sel:DWORD src1_sel:WORD_1
	v_fma_f16 v9, v14, v0, v9
	v_mul_f16_sdwa v14, v14, v0 dst_sel:DWORD dst_unused:UNUSED_PAD src0_sel:DWORD src1_sel:WORD_1
	v_fma_f16 v75, v11, v0, -v14
	ds_read2_b32 v[14:15], v117 offset0:40 offset1:140
	s_waitcnt lgkmcnt(1)
	v_lshrrev_b32_e32 v29, 16, v13
	v_mul_f16_sdwa v11, v13, v2 dst_sel:DWORD dst_unused:UNUSED_PAD src0_sel:DWORD src1_sel:WORD_1
	v_fma_f16 v11, v29, v2, v11
	v_mul_f16_sdwa v29, v29, v2 dst_sel:DWORD dst_unused:UNUSED_PAD src0_sel:DWORD src1_sel:WORD_1
	v_fma_f16 v13, v13, v2, -v29
	s_waitcnt lgkmcnt(0)
	v_lshrrev_b32_e32 v29, 16, v15
	s_waitcnt vmcnt(1)
	v_mul_f16_sdwa v30, v15, v139 dst_sel:DWORD dst_unused:UNUSED_PAD src0_sel:DWORD src1_sel:WORD_1
	v_fma_f16 v155, v29, v139, v30
	v_mul_f16_sdwa v29, v29, v139 dst_sel:DWORD dst_unused:UNUSED_PAD src0_sel:DWORD src1_sel:WORD_1
	v_fma_f16 v15, v15, v139, -v29
	v_sub_f16_e32 v29, v74, v75
	v_sub_f16_e32 v30, v15, v13
	v_add_f16_e32 v159, v29, v30
	v_sub_f16_e32 v29, v73, v9
	v_sub_f16_e32 v30, v155, v11
	v_add_f16_e32 v160, v29, v30
	v_lshrrev_b32_e32 v29, 16, v77
	v_mul_f16_sdwa v30, v77, v4 dst_sel:DWORD dst_unused:UNUSED_PAD src0_sel:DWORD src1_sel:WORD_1
	v_fma_f16 v161, v29, v4, v30
	v_mul_f16_sdwa v29, v29, v4 dst_sel:DWORD dst_unused:UNUSED_PAD src0_sel:DWORD src1_sel:WORD_1
	v_add_f16_e32 v30, v9, v11
	v_fma_f16 v162, v77, v4, -v29
	v_add_f16_e32 v29, v75, v13
	v_fma_f16 v166, v30, -0.5, v161
	v_sub_f16_e32 v167, v74, v15
	v_fma_f16 v163, v29, -0.5, v162
	v_sub_f16_e32 v164, v73, v155
	v_fma_f16 v30, v167, s12, v166
	v_sub_f16_e32 v168, v75, v13
	v_fma_f16 v29, v164, s1, v163
	;; [unrolled: 2-line block ×3, first 2 shown]
	v_fma_f16 v29, v165, s0, v29
	v_fma_f16 v30, v160, s6, v30
	v_fma_f16 v29, v159, s6, v29
	v_mul_f16_e32 v31, 0x38b4, v30
	v_fma_f16 v169, v29, s13, v31
	v_mul_f16_e32 v29, 0xb8b4, v29
	ds_read2_b32 v[77:78], v123 offset1:100
	v_fma_f16 v170, v30, s13, v29
	global_load_dword v137, v[23:24], off offset:112
	global_load_dword v149, v[27:28], off offset:112
	s_nop 0
	global_load_dwordx4 v[28:31], v[27:28], off offset:96
	v_sub_f16_e32 v178, v43, v19
	v_sub_f16_e32 v179, v44, v17
	s_waitcnt lgkmcnt(0)
	v_add_f16_e32 v25, v77, v45
	v_add_f16_e32 v25, v25, v46
	;; [unrolled: 1-line block ×3, first 2 shown]
	v_lshrrev_b32_e32 v172, 16, v77
	v_add_f16_e32 v171, v25, v21
	v_add_f16_e32 v25, v172, v43
	;; [unrolled: 1-line block ×15, first 2 shown]
	v_pack_b32_f16 v176, v25, v26
	v_add_f16_e32 v25, v46, v47
	v_fma_f16 v177, v25, -0.5, v77
	v_fma_f16 v25, v178, s1, v177
	v_fma_f16 v25, v179, s0, v25
	;; [unrolled: 1-line block ×3, first 2 shown]
	v_add_f16_e32 v25, v44, v17
	v_fma_f16 v181, v25, -0.5, v172
	v_sub_f16_e32 v182, v45, v21
	v_fma_f16 v25, v182, s12, v181
	v_sub_f16_e32 v183, v46, v47
	v_fma_f16 v25, v183, s7, v25
	v_fma_f16 v184, v72, s6, v25
	v_add_f16_e32 v25, v180, v169
	v_add_f16_e32 v26, v184, v170
	v_pack_b32_f16 v185, v25, v26
	ds_read2_b32 v[79:80], v109 offset0:144 offset1:244
	ds_read2_b32 v[81:82], v107 offset0:104 offset1:204
	;; [unrolled: 1-line block ×5, first 2 shown]
	global_load_dwordx4 v[36:39], v[23:24], off offset:80
	s_nop 0
	global_load_dwordx4 v[24:27], v[23:24], off offset:96
	v_sub_f16_e32 v23, v46, v45
	v_add_f16_e32 v45, v45, v21
	v_sub_f16_e32 v21, v47, v21
	v_add_f16_e32 v21, v23, v21
	v_fma_f16 v23, v45, -0.5, v77
	v_fma_f16 v45, v179, s12, v23
	v_fma_f16 v23, v179, s1, v23
	;; [unrolled: 1-line block ×6, first 2 shown]
	v_add_f16_e32 v23, v43, v19
	v_fma_f16 v23, v23, -0.5, v172
	v_sub_f16_e32 v43, v44, v43
	v_sub_f16_e32 v17, v17, v19
	v_fma_f16 v19, v183, s1, v23
	v_fma_f16 v23, v183, s12, v23
	v_add_f16_e32 v17, v43, v17
	v_fma_f16 v19, v182, s7, v19
	v_fma_f16 v23, v182, s0, v23
	;; [unrolled: 1-line block ×4, first 2 shown]
	v_add_f16_e32 v23, v74, v15
	v_fma_f16 v23, v23, -0.5, v162
	v_sub_f16_e32 v43, v75, v74
	v_sub_f16_e32 v13, v13, v15
	v_fma_f16 v15, v165, s12, v23
	v_fma_f16 v23, v165, s1, v23
	v_add_f16_e32 v13, v43, v13
	v_fma_f16 v15, v164, s0, v15
	v_fma_f16 v23, v164, s7, v23
	;; [unrolled: 1-line block ×4, first 2 shown]
	v_add_f16_e32 v23, v73, v155
	v_fma_f16 v23, v23, -0.5, v161
	v_sub_f16_e32 v9, v9, v73
	v_sub_f16_e32 v11, v11, v155
	v_add_f16_e32 v9, v9, v11
	v_fma_f16 v11, v168, s1, v23
	v_fma_f16 v11, v167, s7, v11
	v_fma_f16 v23, v168, s12, v23
	v_fma_f16 v11, v9, s6, v11
	v_fma_f16 v23, v167, s0, v23
	v_fma_f16 v9, v9, s6, v23
	v_mul_f16_e32 v23, 0x3b9c, v11
	v_fma_f16 v23, v15, s6, v23
	v_mul_f16_e32 v15, 0xbb9c, v15
	v_fma_f16 v11, v11, s6, v15
	;; [unrolled: 2-line block ×4, first 2 shown]
	v_add_f16_e32 v13, v45, v23
	v_add_f16_e32 v43, v19, v11
	v_pack_b32_f16 v13, v13, v43
	v_add_f16_e32 v43, v21, v15
	v_add_f16_e32 v44, v17, v9
	v_pack_b32_f16 v43, v43, v44
	v_fma_f16 v44, v164, s12, v163
	v_fma_f16 v44, v165, s7, v44
	v_fma_f16 v46, v167, s1, v166
	v_fma_f16 v44, v159, s6, v44
	v_fma_f16 v46, v168, s0, v46
	s_waitcnt vmcnt(0) lgkmcnt(0)
	s_barrier
	ds_write2_b32 v146, v13, v43 offset0:60 offset1:90
	v_fma_f16 v13, v178, s12, v177
	v_fma_f16 v43, v182, s1, v181
	;; [unrolled: 1-line block ×3, first 2 shown]
	v_mul_f16_e32 v47, 0xba79, v44
	v_fma_f16 v13, v179, s7, v13
	v_fma_f16 v43, v183, s0, v43
	;; [unrolled: 1-line block ×3, first 2 shown]
	v_mul_f16_e32 v46, 0xba79, v46
	v_fma_f16 v13, v71, s6, v13
	v_fma_f16 v43, v72, s6, v43
	;; [unrolled: 1-line block ×3, first 2 shown]
	v_sub_f16_e32 v46, v171, v174
	v_sub_f16_e32 v71, v173, v175
	v_add_f16_e32 v72, v13, v47
	v_add_f16_e32 v73, v43, v44
	v_pack_b32_f16 v72, v72, v73
	v_pack_b32_f16 v46, v46, v71
	ds_write2_b32 v146, v72, v46 offset0:120 offset1:150
	v_sub_f16_e32 v46, v180, v169
	v_sub_f16_e32 v23, v45, v23
	;; [unrolled: 1-line block ×4, first 2 shown]
	v_pack_b32_f16 v19, v46, v45
	v_pack_b32_f16 v11, v23, v11
	ds_write2_b32 v146, v19, v11 offset0:180 offset1:210
	v_sub_f16_e32 v11, v21, v15
	v_sub_f16_e32 v13, v13, v47
	;; [unrolled: 1-line block ×4, first 2 shown]
	v_pack_b32_f16 v9, v11, v9
	v_pack_b32_f16 v11, v13, v15
	v_add_u32_e32 v155, 0x200, v146
	ds_write2_b32 v155, v9, v11 offset0:112 offset1:142
	v_lshrrev_b32_e32 v9, 16, v16
	v_mul_f16_sdwa v13, v16, v33 dst_sel:DWORD dst_unused:UNUSED_PAD src0_sel:DWORD src1_sel:WORD_1
	v_mul_f16_sdwa v11, v9, v33 dst_sel:DWORD dst_unused:UNUSED_PAD src0_sel:DWORD src1_sel:WORD_1
	v_fma_f16 v9, v9, v33, v13
	v_lshrrev_b32_e32 v13, 16, v18
	v_fma_f16 v11, v16, v33, -v11
	v_mul_f16_sdwa v15, v13, v35 dst_sel:DWORD dst_unused:UNUSED_PAD src0_sel:DWORD src1_sel:WORD_1
	v_mul_f16_sdwa v16, v18, v35 dst_sel:DWORD dst_unused:UNUSED_PAD src0_sel:DWORD src1_sel:WORD_1
	v_fma_f16 v15, v18, v35, -v15
	v_fma_f16 v13, v13, v35, v16
	v_lshrrev_b32_e32 v16, 16, v20
	v_mul_f16_sdwa v18, v20, v29 dst_sel:DWORD dst_unused:UNUSED_PAD src0_sel:DWORD src1_sel:WORD_1
	v_mul_f16_sdwa v17, v16, v29 dst_sel:DWORD dst_unused:UNUSED_PAD src0_sel:DWORD src1_sel:WORD_1
	v_fma_f16 v16, v16, v29, v18
	v_lshrrev_b32_e32 v18, 16, v22
	v_mul_f16_sdwa v19, v18, v31 dst_sel:DWORD dst_unused:UNUSED_PAD src0_sel:DWORD src1_sel:WORD_1
	v_fma_f16 v17, v20, v29, -v17
	v_fma_f16 v19, v22, v31, -v19
	v_mul_f16_sdwa v20, v22, v31 dst_sel:DWORD dst_unused:UNUSED_PAD src0_sel:DWORD src1_sel:WORD_1
	v_fma_f16 v18, v18, v31, v20
	v_sub_f16_e32 v43, v11, v15
	v_sub_f16_e32 v44, v19, v17
	v_add_f16_e32 v43, v43, v44
	v_sub_f16_e32 v44, v9, v13
	v_sub_f16_e32 v45, v18, v16
	v_add_f16_e32 v44, v44, v45
	v_lshrrev_b32_e32 v45, 16, v81
	v_mul_f16_sdwa v46, v81, v34 dst_sel:DWORD dst_unused:UNUSED_PAD src0_sel:DWORD src1_sel:WORD_1
	v_lshrrev_b32_e32 v47, 16, v151
	v_mul_f16_sdwa v71, v151, v28 dst_sel:DWORD dst_unused:UNUSED_PAD src0_sel:DWORD src1_sel:WORD_1
	;; [unrolled: 2-line block ×4, first 2 shown]
	v_fma_f16 v46, v45, v34, v46
	v_mul_f16_sdwa v45, v45, v34 dst_sel:DWORD dst_unused:UNUSED_PAD src0_sel:DWORD src1_sel:WORD_1
	v_fma_f16 v71, v47, v28, v71
	v_mul_f16_sdwa v47, v47, v28 dst_sel:DWORD dst_unused:UNUSED_PAD src0_sel:DWORD src1_sel:WORD_1
	;; [unrolled: 2-line block ×4, first 2 shown]
	v_add_f16_e32 v20, v15, v17
	v_add_f16_e32 v21, v11, v19
	v_fma_f16 v45, v81, v34, -v45
	v_fma_f16 v47, v151, v28, -v47
	;; [unrolled: 1-line block ×4, first 2 shown]
	v_fma_f16 v20, v20, -0.5, v78
	v_fma_f16 v21, v21, -0.5, v78
	v_lshrrev_b32_e32 v22, 16, v78
	v_add_f16_e32 v23, v78, v11
	v_sub_f16_e32 v77, v45, v47
	v_sub_f16_e32 v78, v74, v72
	v_add_f16_e32 v77, v77, v78
	v_sub_f16_e32 v78, v46, v71
	v_sub_f16_e32 v81, v75, v73
	v_add_f16_e32 v78, v78, v81
	v_lshrrev_b32_e32 v81, 16, v79
	v_mul_f16_sdwa v151, v79, v32 dst_sel:DWORD dst_unused:UNUSED_PAD src0_sel:DWORD src1_sel:WORD_1
	v_fma_f16 v153, v81, v32, v151
	v_mul_f16_sdwa v81, v81, v32 dst_sel:DWORD dst_unused:UNUSED_PAD src0_sel:DWORD src1_sel:WORD_1
	v_add_f16_e32 v160, v71, v73
	v_fma_f16 v79, v79, v32, -v81
	v_add_f16_e32 v81, v47, v72
	v_fma_f16 v160, v160, -0.5, v153
	v_sub_f16_e32 v161, v45, v74
	v_fma_f16 v81, v81, -0.5, v79
	v_sub_f16_e32 v156, v46, v75
	v_fma_f16 v162, v161, s12, v160
	v_sub_f16_e32 v163, v47, v72
	v_fma_f16 v151, v156, s1, v81
	;; [unrolled: 2-line block ×3, first 2 shown]
	v_fma_f16 v151, v159, s0, v151
	v_fma_f16 v162, v78, s6, v162
	;; [unrolled: 1-line block ×3, first 2 shown]
	v_mul_f16_e32 v164, 0x38b4, v162
	v_fma_f16 v164, v151, s13, v164
	v_mul_f16_e32 v151, 0xb8b4, v151
	v_fma_f16 v162, v162, s13, v151
	v_add_lshl_u32 v151, v42, v158, 2
	v_add_f16_e32 v42, v22, v9
	v_add_f16_e32 v158, v79, v45
	;; [unrolled: 1-line block ×17, first 2 shown]
	v_sub_f16_e32 v169, v13, v16
	v_sub_f16_e32 v171, v11, v19
	;; [unrolled: 1-line block ×5, first 2 shown]
	v_pack_b32_f16 v166, v166, v167
	v_sub_f16_e32 v167, v9, v18
	v_add_f16_e32 v11, v11, v15
	v_fma_f16 v15, v169, s12, v21
	v_fma_f16 v17, v169, s1, v21
	;; [unrolled: 1-line block ×6, first 2 shown]
	v_add_f16_e32 v17, v9, v18
	v_add_f16_e32 v170, v13, v16
	v_fma_f16 v17, v17, -0.5, v22
	v_sub_f16_e32 v9, v13, v9
	v_sub_f16_e32 v13, v16, v18
	v_add_f16_e32 v9, v9, v13
	v_fma_f16 v13, v173, s1, v17
	v_fma_f16 v16, v173, s12, v17
	v_fma_f16 v13, v171, s7, v13
	v_fma_f16 v16, v171, s0, v16
	v_fma_f16 v13, v9, s6, v13
	v_fma_f16 v9, v9, s6, v16
	v_add_f16_e32 v16, v45, v74
	v_fma_f16 v16, v16, -0.5, v79
	v_sub_f16_e32 v17, v47, v45
	v_sub_f16_e32 v18, v72, v74
	v_add_f16_e32 v17, v17, v18
	v_fma_f16 v18, v159, s12, v16
	v_fma_f16 v16, v159, s1, v16
	v_fma_f16 v18, v156, s0, v18
	v_fma_f16 v16, v156, s7, v16
	v_fma_f16 v18, v17, s6, v18
	v_fma_f16 v16, v17, s6, v16
	;; [unrolled: 11-line block ×3, first 2 shown]
	v_mul_f16_e32 v19, 0x3b9c, v21
	v_fma_f16 v19, v18, s6, v19
	v_mul_f16_e32 v18, 0xbb9c, v18
	v_fma_f16 v18, v21, s6, v18
	;; [unrolled: 2-line block ×3, first 2 shown]
	v_mul_f16_e32 v17, 0xb4f2, v17
	v_fma_f16 v170, v170, -0.5, v22
	v_fma_f16 v16, v16, s12, v17
	v_add_f16_e32 v17, v15, v19
	v_add_f16_e32 v22, v13, v18
	v_pack_b32_f16 v17, v17, v22
	v_add_f16_e32 v22, v11, v21
	v_add_f16_e32 v45, v9, v16
	v_pack_b32_f16 v22, v22, v45
	ds_write2_b32 v146, v176, v185 offset1:30
	v_fma_f16 v168, v167, s1, v20
	ds_write2_b32 v151, v17, v22 offset0:60 offset1:90
	v_fma_f16 v17, v167, s12, v20
	v_fma_f16 v168, v169, s0, v168
	;; [unrolled: 1-line block ×17, first 2 shown]
	v_mul_f16_e32 v44, 0xba79, v22
	v_fma_f16 v44, v43, s0, v44
	v_mul_f16_e32 v43, 0xba79, v43
	v_fma_f16 v22, v22, s7, v43
	v_sub_f16_e32 v23, v23, v158
	v_sub_f16_e32 v42, v42, v165
	v_add_f16_e32 v43, v17, v44
	v_add_f16_e32 v45, v20, v22
	v_pack_b32_f16 v43, v43, v45
	v_pack_b32_f16 v23, v23, v42
	ds_write2_b32 v151, v43, v23 offset0:120 offset1:150
	v_sub_f16_e32 v23, v168, v164
	v_sub_f16_e32 v15, v15, v19
	;; [unrolled: 1-line block ×4, first 2 shown]
	v_pack_b32_f16 v18, v23, v19
	v_pack_b32_f16 v13, v15, v13
	ds_write2_b32 v151, v18, v13 offset0:180 offset1:210
	v_sub_f16_e32 v11, v11, v21
	v_sub_f16_e32 v13, v17, v44
	;; [unrolled: 1-line block ×4, first 2 shown]
	v_pack_b32_f16 v9, v11, v9
	v_pack_b32_f16 v11, v13, v15
	v_add_u32_e32 v156, 0x200, v151
	ds_write2_b32 v156, v9, v11 offset0:112 offset1:142
	v_lshrrev_b32_e32 v9, 16, v80
	v_mul_f16_sdwa v13, v80, v36 dst_sel:DWORD dst_unused:UNUSED_PAD src0_sel:DWORD src1_sel:WORD_1
	v_mul_f16_sdwa v11, v9, v36 dst_sel:DWORD dst_unused:UNUSED_PAD src0_sel:DWORD src1_sel:WORD_1
	v_fma_f16 v9, v9, v36, v13
	v_lshrrev_b32_e32 v13, 16, v8
	v_mul_f16_sdwa v15, v13, v37 dst_sel:DWORD dst_unused:UNUSED_PAD src0_sel:DWORD src1_sel:WORD_1
	v_fma_f16 v15, v8, v37, -v15
	v_mul_f16_sdwa v8, v8, v37 dst_sel:DWORD dst_unused:UNUSED_PAD src0_sel:DWORD src1_sel:WORD_1
	v_fma_f16 v8, v13, v37, v8
	v_lshrrev_b32_e32 v13, 16, v82
	v_mul_f16_sdwa v17, v82, v38 dst_sel:DWORD dst_unused:UNUSED_PAD src0_sel:DWORD src1_sel:WORD_1
	v_mul_f16_sdwa v16, v13, v38 dst_sel:DWORD dst_unused:UNUSED_PAD src0_sel:DWORD src1_sel:WORD_1
	v_fma_f16 v13, v13, v38, v17
	v_lshrrev_b32_e32 v17, 16, v10
	v_mul_f16_sdwa v18, v17, v39 dst_sel:DWORD dst_unused:UNUSED_PAD src0_sel:DWORD src1_sel:WORD_1
	v_fma_f16 v18, v10, v39, -v18
	v_mul_f16_sdwa v10, v10, v39 dst_sel:DWORD dst_unused:UNUSED_PAD src0_sel:DWORD src1_sel:WORD_1
	v_fma_f16 v10, v17, v39, v10
	;; [unrolled: 9-line block ×4, first 2 shown]
	v_lshrrev_b32_e32 v23, 16, v157
	v_mul_f16_sdwa v43, v23, v137 dst_sel:DWORD dst_unused:UNUSED_PAD src0_sel:DWORD src1_sel:WORD_1
	v_sub_f16_e32 v71, v15, v18
	v_sub_f16_e32 v72, v42, v21
	v_fma_f16 v16, v82, v38, -v16
	v_fma_f16 v19, v152, v24, -v19
	;; [unrolled: 1-line block ×4, first 2 shown]
	v_mul_f16_sdwa v44, v157, v137 dst_sel:DWORD dst_unused:UNUSED_PAD src0_sel:DWORD src1_sel:WORD_1
	v_add_f16_e32 v71, v71, v72
	v_sub_f16_e32 v72, v8, v10
	v_sub_f16_e32 v73, v14, v12
	v_fma_f16 v23, v23, v137, v44
	v_add_f16_e32 v72, v72, v73
	v_sub_f16_e32 v73, v16, v19
	v_sub_f16_e32 v74, v43, v22
	v_add_f16_e32 v73, v73, v74
	v_sub_f16_e32 v74, v13, v17
	v_sub_f16_e32 v75, v23, v20
	v_add_f16_e32 v79, v17, v20
	v_fma_f16 v11, v80, v36, -v11
	v_add_f16_e32 v44, v18, v21
	v_add_f16_e32 v45, v15, v42
	;; [unrolled: 1-line block ×4, first 2 shown]
	v_fma_f16 v79, v79, -0.5, v9
	v_sub_f16_e32 v80, v16, v43
	v_fma_f16 v44, v44, -0.5, v76
	v_fma_f16 v45, v45, -0.5, v76
	v_lshrrev_b32_e32 v46, 16, v76
	v_add_f16_e32 v47, v76, v15
	v_fma_f16 v75, v75, -0.5, v11
	v_sub_f16_e32 v76, v13, v23
	v_fma_f16 v81, v80, s12, v79
	v_sub_f16_e32 v82, v19, v22
	v_fma_f16 v77, v76, s1, v75
	;; [unrolled: 2-line block ×3, first 2 shown]
	v_fma_f16 v77, v78, s0, v77
	v_fma_f16 v81, v74, s6, v81
	;; [unrolled: 1-line block ×3, first 2 shown]
	v_mul_f16_e32 v152, 0x38b4, v81
	v_fma_f16 v152, v77, s13, v152
	v_mul_f16_e32 v77, 0xb8b4, v77
	v_fma_f16 v77, v81, s13, v77
	v_add_f16_e32 v41, v47, v18
	v_add_f16_e32 v47, v46, v8
	;; [unrolled: 1-line block ×16, first 2 shown]
	v_sub_f16_e32 v159, v10, v12
	v_sub_f16_e32 v162, v15, v42
	;; [unrolled: 1-line block ×5, first 2 shown]
	v_add_f16_e32 v154, v41, v81
	v_add_f16_e32 v157, v47, v153
	v_sub_f16_e32 v158, v8, v14
	v_add_f16_e32 v15, v15, v18
	v_fma_f16 v18, v159, s12, v45
	v_fma_f16 v21, v159, s1, v45
	v_pack_b32_f16 v157, v154, v157
	v_fma_f16 v154, v158, s1, v44
	v_fma_f16 v18, v158, s0, v18
	;; [unrolled: 1-line block ×6, first 2 shown]
	v_add_f16_e32 v21, v8, v14
	v_fma_f16 v160, v71, s6, v154
	v_add_f16_e32 v154, v10, v12
	v_fma_f16 v21, v21, -0.5, v46
	v_sub_f16_e32 v8, v10, v8
	v_sub_f16_e32 v10, v12, v14
	v_add_f16_e32 v8, v8, v10
	v_fma_f16 v10, v163, s1, v21
	v_fma_f16 v12, v163, s12, v21
	v_fma_f16 v10, v162, s7, v10
	v_fma_f16 v12, v162, s0, v12
	v_fma_f16 v10, v8, s6, v10
	v_fma_f16 v8, v8, s6, v12
	v_add_f16_e32 v12, v16, v43
	v_fma_f16 v11, v12, -0.5, v11
	v_sub_f16_e32 v12, v19, v16
	v_sub_f16_e32 v14, v22, v43
	v_add_f16_e32 v12, v12, v14
	v_fma_f16 v14, v78, s12, v11
	v_fma_f16 v11, v78, s1, v11
	v_fma_f16 v14, v76, s0, v14
	v_fma_f16 v11, v76, s7, v11
	v_fma_f16 v14, v12, s6, v14
	;; [unrolled: 11-line block ×3, first 2 shown]
	v_fma_f16 v9, v12, s6, v9
	v_mul_f16_e32 v12, 0x3b9c, v13
	v_fma_f16 v12, v14, s6, v12
	v_mul_f16_e32 v14, 0xbb9c, v14
	;; [unrolled: 2-line block ×3, first 2 shown]
	v_fma_f16 v161, v154, -0.5, v46
	v_fma_f16 v14, v9, s1, v14
	v_mul_f16_e32 v9, 0xb4f2, v9
	v_fma_f16 v154, v162, s12, v161
	v_fma_f16 v9, v11, s12, v9
	v_add_f16_e32 v11, v18, v12
	v_add_f16_e32 v16, v10, v13
	v_fma_f16 v154, v163, s7, v154
	v_pack_b32_f16 v11, v11, v16
	v_add_f16_e32 v16, v15, v14
	v_add_f16_e32 v17, v8, v9
	;; [unrolled: 1-line block ×3, first 2 shown]
	v_fma_f16 v164, v72, s6, v154
	v_pack_b32_f16 v16, v16, v17
	v_fma_f16 v17, v76, s12, v75
	v_add_f16_e32 v154, v160, v152
	v_add_f16_e32 v165, v164, v77
	v_fma_f16 v17, v78, s7, v17
	v_fma_f16 v19, v80, s1, v79
	v_pack_b32_f16 v174, v174, v175
	v_pack_b32_f16 v165, v154, v165
	v_lshlrev_b32_e32 v154, 2, v40
	v_fma_f16 v17, v73, s6, v17
	v_fma_f16 v19, v82, s0, v19
	ds_write2_b32 v151, v166, v174 offset1:30
	ds_write2_b32 v154, v11, v16 offset0:60 offset1:90
	v_fma_f16 v11, v158, s12, v44
	v_fma_f16 v16, v162, s1, v161
	;; [unrolled: 1-line block ×3, first 2 shown]
	v_mul_f16_e32 v20, 0xba79, v17
	v_fma_f16 v11, v159, s7, v11
	v_fma_f16 v16, v163, s0, v16
	;; [unrolled: 1-line block ×3, first 2 shown]
	v_mul_f16_e32 v19, 0xba79, v19
	v_fma_f16 v11, v71, s6, v11
	v_fma_f16 v16, v72, s6, v16
	;; [unrolled: 1-line block ×3, first 2 shown]
	v_sub_f16_e32 v19, v41, v81
	v_sub_f16_e32 v21, v47, v153
	v_add_f16_e32 v22, v11, v20
	v_add_f16_e32 v23, v16, v17
	v_pack_b32_f16 v22, v22, v23
	v_pack_b32_f16 v19, v19, v21
	ds_write2_b32 v154, v22, v19 offset0:120 offset1:150
	v_sub_f16_e32 v19, v160, v152
	v_sub_f16_e32 v12, v18, v12
	;; [unrolled: 1-line block ×4, first 2 shown]
	v_mad_u64_u32 v[40:41], s[2:3], v119, 36, s[2:3]
	v_pack_b32_f16 v13, v19, v18
	v_pack_b32_f16 v10, v12, v10
	ds_write2_b32 v154, v13, v10 offset0:180 offset1:210
	v_sub_f16_e32 v10, v15, v14
	v_sub_f16_e32 v11, v11, v20
	;; [unrolled: 1-line block ×4, first 2 shown]
	ds_write2_b32 v154, v157, v165 offset1:30
	v_pack_b32_f16 v8, v10, v8
	v_pack_b32_f16 v9, v11, v9
	v_add_u32_e32 v157, 0x200, v154
	ds_write2_b32 v157, v8, v9 offset0:112 offset1:142
	s_waitcnt lgkmcnt(0)
	s_barrier
	global_load_dwordx4 v[20:23], v[40:41], off offset:1160
	s_movk_i32 s2, 0xe10
	v_add_co_u32_e32 v42, vcc, s2, v40
	v_addc_co_u32_e32 v43, vcc, 0, v41, vcc
	global_load_dwordx4 v[16:19], v[42:43], off offset:1160
	global_load_dwordx4 v[12:15], v[40:41], off offset:1176
	global_load_dwordx4 v[8:11], v[42:43], off offset:1176
	global_load_dword v152, v[42:43], off offset:1192
	global_load_dword v153, v[40:41], off offset:1192
	ds_read2_b32 v[44:45], v128 offset0:88 offset1:188
	s_movk_i32 s2, 0x1c20
	v_add_co_u32_e32 v73, vcc, s2, v40
	v_addc_co_u32_e32 v74, vcc, 0, v41, vcc
	s_waitcnt lgkmcnt(0)
	v_lshrrev_b32_e32 v42, 16, v44
	v_lshrrev_b32_e32 v47, 16, v45
	ds_read2_b32 v[81:82], v117 offset0:40 offset1:140
	s_movk_i32 s2, 0x4000
	s_mov_b32 s3, 0xba79
	s_waitcnt vmcnt(5)
	v_mul_f16_sdwa v43, v44, v21 dst_sel:DWORD dst_unused:UNUSED_PAD src0_sel:DWORD src1_sel:WORD_1
	v_fma_f16 v46, v42, v21, v43
	v_mul_f16_sdwa v42, v42, v21 dst_sel:DWORD dst_unused:UNUSED_PAD src0_sel:DWORD src1_sel:WORD_1
	v_fma_f16 v44, v44, v21, -v42
	ds_read2_b32 v[42:43], v126 offset0:48 offset1:148
	s_waitcnt vmcnt(4)
	v_mul_f16_sdwa v71, v47, v17 dst_sel:DWORD dst_unused:UNUSED_PAD src0_sel:DWORD src1_sel:WORD_1
	v_fma_f16 v159, v45, v17, -v71
	v_mul_f16_sdwa v45, v45, v17 dst_sel:DWORD dst_unused:UNUSED_PAD src0_sel:DWORD src1_sel:WORD_1
	v_fma_f16 v158, v47, v17, v45
	s_waitcnt lgkmcnt(0)
	v_lshrrev_b32_e32 v45, 16, v42
	v_mul_f16_sdwa v47, v42, v23 dst_sel:DWORD dst_unused:UNUSED_PAD src0_sel:DWORD src1_sel:WORD_1
	v_fma_f16 v47, v45, v23, v47
	v_mul_f16_sdwa v45, v45, v23 dst_sel:DWORD dst_unused:UNUSED_PAD src0_sel:DWORD src1_sel:WORD_1
	v_fma_f16 v45, v42, v23, -v45
	v_lshrrev_b32_e32 v42, 16, v43
	v_mul_f16_sdwa v71, v42, v19 dst_sel:DWORD dst_unused:UNUSED_PAD src0_sel:DWORD src1_sel:WORD_1
	v_fma_f16 v161, v43, v19, -v71
	v_mul_f16_sdwa v43, v43, v19 dst_sel:DWORD dst_unused:UNUSED_PAD src0_sel:DWORD src1_sel:WORD_1
	v_fma_f16 v160, v42, v19, v43
	ds_read2_b32 v[42:43], v124 offset0:8 offset1:108
	s_waitcnt lgkmcnt(0)
	v_lshrrev_b32_e32 v40, 16, v42
	s_waitcnt vmcnt(3)
	v_mul_f16_sdwa v41, v42, v13 dst_sel:DWORD dst_unused:UNUSED_PAD src0_sel:DWORD src1_sel:WORD_1
	v_fma_f16 v71, v40, v13, v41
	v_mul_f16_sdwa v40, v40, v13 dst_sel:DWORD dst_unused:UNUSED_PAD src0_sel:DWORD src1_sel:WORD_1
	v_fma_f16 v42, v42, v13, -v40
	ds_read2_b32 v[40:41], v120 offset0:96 offset1:196
	v_lshrrev_b32_e32 v72, 16, v43
	s_waitcnt vmcnt(2)
	v_mul_f16_sdwa v75, v72, v9 dst_sel:DWORD dst_unused:UNUSED_PAD src0_sel:DWORD src1_sel:WORD_1
	v_fma_f16 v163, v43, v9, -v75
	v_mul_f16_sdwa v43, v43, v9 dst_sel:DWORD dst_unused:UNUSED_PAD src0_sel:DWORD src1_sel:WORD_1
	v_fma_f16 v162, v72, v9, v43
	s_waitcnt lgkmcnt(0)
	v_lshrrev_b32_e32 v43, 16, v40
	v_mul_f16_sdwa v72, v40, v15 dst_sel:DWORD dst_unused:UNUSED_PAD src0_sel:DWORD src1_sel:WORD_1
	v_fma_f16 v72, v43, v15, v72
	v_mul_f16_sdwa v43, v43, v15 dst_sel:DWORD dst_unused:UNUSED_PAD src0_sel:DWORD src1_sel:WORD_1
	v_fma_f16 v43, v40, v15, -v43
	v_lshrrev_b32_e32 v40, 16, v41
	v_mul_f16_sdwa v75, v40, v11 dst_sel:DWORD dst_unused:UNUSED_PAD src0_sel:DWORD src1_sel:WORD_1
	v_fma_f16 v165, v41, v11, -v75
	v_mul_f16_sdwa v41, v41, v11 dst_sel:DWORD dst_unused:UNUSED_PAD src0_sel:DWORD src1_sel:WORD_1
	v_fma_f16 v164, v40, v11, v41
	ds_read2_b32 v[40:41], v123 offset1:100
	v_sub_f16_e32 v75, v44, v45
	v_sub_f16_e32 v76, v43, v42
	v_add_f16_e32 v75, v75, v76
	v_add_f16_e32 v76, v45, v42
	s_waitcnt lgkmcnt(0)
	v_fma_f16 v76, v76, -0.5, v40
	v_sub_f16_e32 v77, v46, v72
	v_fma_f16 v78, v77, s1, v76
	v_sub_f16_e32 v79, v47, v71
	v_fma_f16 v76, v77, s12, v76
	v_fma_f16 v78, v79, s0, v78
	;; [unrolled: 1-line block ×5, first 2 shown]
	v_sub_f16_e32 v75, v45, v44
	v_sub_f16_e32 v76, v42, v43
	v_add_f16_e32 v75, v75, v76
	v_add_f16_e32 v76, v44, v43
	v_fma_f16 v76, v76, -0.5, v40
	v_fma_f16 v78, v79, s12, v76
	v_fma_f16 v76, v79, s1, v76
	;; [unrolled: 1-line block ×6, first 2 shown]
	v_add_f16_e32 v75, v40, v44
	v_add_f16_e32 v75, v75, v45
	;; [unrolled: 1-line block ×4, first 2 shown]
	v_sub_f16_e32 v43, v44, v43
	v_sub_f16_e32 v42, v45, v42
	;; [unrolled: 1-line block ×4, first 2 shown]
	v_add_f16_e32 v44, v44, v45
	v_lshrrev_b32_e32 v45, 16, v40
	v_add_f16_e32 v40, v47, v71
	v_fma_f16 v40, v40, -0.5, v45
	v_fma_f16 v75, v43, s12, v40
	v_fma_f16 v40, v43, s1, v40
	;; [unrolled: 1-line block ×6, first 2 shown]
	v_add_f16_e32 v44, v46, v72
	ds_read2_b32 v[75:76], v127 offset0:32 offset1:132
	v_fma_f16 v44, v44, -0.5, v45
	v_add_f16_e32 v45, v45, v46
	ds_read2_b32 v[77:78], v125 offset0:120 offset1:220
	v_add_f16_e32 v45, v45, v47
	v_sub_f16_e32 v46, v47, v46
	v_sub_f16_e32 v47, v71, v72
	ds_read2_b32 v[79:80], v122 offset0:80 offset1:180
	v_add_f16_e32 v46, v46, v47
	v_fma_f16 v47, v42, s1, v44
	v_fma_f16 v42, v42, s12, v44
	;; [unrolled: 1-line block ×6, first 2 shown]
	s_waitcnt lgkmcnt(2)
	v_lshrrev_b32_e32 v44, 16, v76
	v_mul_f16_sdwa v46, v76, v22 dst_sel:DWORD dst_unused:UNUSED_PAD src0_sel:DWORD src1_sel:WORD_1
	v_add_f16_e32 v45, v45, v71
	v_fma_f16 v46, v44, v22, v46
	v_mul_f16_sdwa v44, v44, v22 dst_sel:DWORD dst_unused:UNUSED_PAD src0_sel:DWORD src1_sel:WORD_1
	s_waitcnt lgkmcnt(1)
	v_lshrrev_b32_e32 v47, 16, v78
	v_mul_f16_sdwa v71, v78, v12 dst_sel:DWORD dst_unused:UNUSED_PAD src0_sel:DWORD src1_sel:WORD_1
	v_add_f16_e32 v45, v45, v72
	v_fma_f16 v44, v76, v22, -v44
	v_fma_f16 v76, v47, v12, v71
	v_mul_f16_sdwa v47, v47, v12 dst_sel:DWORD dst_unused:UNUSED_PAD src0_sel:DWORD src1_sel:WORD_1
	s_waitcnt lgkmcnt(0)
	v_lshrrev_b32_e32 v71, 16, v80
	v_mul_f16_sdwa v72, v80, v14 dst_sel:DWORD dst_unused:UNUSED_PAD src0_sel:DWORD src1_sel:WORD_1
	v_fma_f16 v47, v78, v12, -v47
	v_fma_f16 v78, v71, v14, v72
	v_mul_f16_sdwa v71, v71, v14 dst_sel:DWORD dst_unused:UNUSED_PAD src0_sel:DWORD src1_sel:WORD_1
	v_fma_f16 v80, v80, v14, -v71
	v_lshrrev_b32_e32 v71, 16, v82
	s_waitcnt vmcnt(0)
	v_mul_f16_sdwa v72, v82, v153 dst_sel:DWORD dst_unused:UNUSED_PAD src0_sel:DWORD src1_sel:WORD_1
	v_fma_f16 v172, v71, v153, v72
	v_mul_f16_sdwa v173, v71, v153 dst_sel:DWORD dst_unused:UNUSED_PAD src0_sel:DWORD src1_sel:WORD_1
	ds_read2_b32 v[71:72], v131 offset0:72 offset1:172
	v_fma_f16 v82, v82, v153, -v173
	v_sub_f16_e32 v173, v44, v47
	v_sub_f16_e32 v174, v82, v80
	v_add_f16_e32 v173, v173, v174
	s_waitcnt lgkmcnt(0)
	v_lshrrev_b32_e32 v174, 16, v72
	v_mul_f16_sdwa v175, v72, v20 dst_sel:DWORD dst_unused:UNUSED_PAD src0_sel:DWORD src1_sel:WORD_1
	v_fma_f16 v175, v174, v20, v175
	v_mul_f16_sdwa v174, v174, v20 dst_sel:DWORD dst_unused:UNUSED_PAD src0_sel:DWORD src1_sel:WORD_1
	v_fma_f16 v72, v72, v20, -v174
	v_add_f16_e32 v174, v47, v80
	v_fma_f16 v174, v174, -0.5, v72
	v_sub_f16_e32 v176, v46, v172
	v_fma_f16 v177, v176, s1, v174
	v_sub_f16_e32 v178, v76, v78
	v_fma_f16 v174, v176, s12, v174
	v_fma_f16 v177, v178, s0, v177
	;; [unrolled: 1-line block ×5, first 2 shown]
	v_sub_f16_e32 v174, v47, v44
	v_sub_f16_e32 v179, v80, v82
	v_add_f16_e32 v174, v174, v179
	v_add_f16_e32 v179, v44, v82
	v_fma_f16 v179, v179, -0.5, v72
	v_add_f16_e32 v72, v72, v44
	v_add_f16_e32 v72, v72, v47
	;; [unrolled: 1-line block ×4, first 2 shown]
	v_sub_f16_e32 v44, v44, v82
	v_sub_f16_e32 v47, v47, v80
	;; [unrolled: 1-line block ×4, first 2 shown]
	v_fma_f16 v180, v178, s12, v179
	v_fma_f16 v178, v178, s1, v179
	v_add_f16_e32 v80, v80, v82
	v_add_f16_e32 v82, v76, v78
	v_fma_f16 v179, v176, s0, v180
	v_fma_f16 v176, v176, s7, v178
	v_fma_f16 v82, v82, -0.5, v175
	v_fma_f16 v178, v174, s6, v179
	v_fma_f16 v174, v174, s6, v176
	;; [unrolled: 1-line block ×8, first 2 shown]
	v_add_f16_e32 v82, v46, v172
	v_fma_f16 v82, v82, -0.5, v175
	v_add_f16_e32 v175, v175, v46
	v_add_f16_e32 v175, v175, v76
	v_sub_f16_e32 v46, v76, v46
	v_add_f16_e32 v76, v175, v78
	v_sub_f16_e32 v78, v78, v172
	v_add_f16_e32 v46, v46, v78
	v_fma_f16 v78, v47, s1, v82
	v_fma_f16 v47, v47, s12, v82
	v_fma_f16 v78, v44, s7, v78
	v_add_f16_e32 v76, v76, v172
	v_fma_f16 v44, v44, s0, v47
	v_fma_f16 v47, v46, s6, v78
	v_mul_f16_e32 v172, 0xbb9c, v178
	v_fma_f16 v44, v46, s6, v44
	v_mul_f16_e32 v82, 0x3b9c, v47
	;; [unrolled: 2-line block ×4, first 2 shown]
	v_mul_f16_e32 v46, 0x38b4, v176
	v_mul_f16_e32 v78, 0xb8b4, v177
	v_fma_f16 v44, v174, s12, v44
	v_mul_f16_e32 v174, 0xba79, v173
	v_fma_f16 v46, v177, s13, v46
	v_fma_f16 v78, v176, s13, v78
	;; [unrolled: 1-line block ×4, first 2 shown]
	v_mul_f16_e32 v80, 0xba79, v80
	v_fma_f16 v80, v173, s7, v80
	v_add_f16_e32 v173, v170, v72
	v_sub_f16_e32 v72, v170, v72
	v_add_f16_e32 v170, v166, v46
	v_sub_f16_e32 v166, v166, v46
	;; [unrolled: 2-line block ×9, first 2 shown]
	global_load_dwordx4 v[44:47], v[73:74], off offset:1160
	v_add_f16_e32 v42, v40, v80
	v_sub_f16_e32 v80, v40, v80
	v_add_f16_e32 v40, v161, v163
	v_fma_f16 v179, v40, -0.5, v41
	v_add_f16_e32 v40, v159, v165
	v_fma_f16 v180, v40, -0.5, v41
	v_pack_b32_f16 v40, v170, v176
	ds_write_b32 v123, v40 offset:1200
	v_pack_b32_f16 v40, v175, v171
	ds_write_b32 v123, v40 offset:2400
	;; [unrolled: 2-line block ×4, first 2 shown]
	v_pack_b32_f16 v40, v72, v76
	v_lshrrev_b32_e32 v181, 16, v41
	v_add_f16_e32 v182, v41, v159
	ds_write_b32 v123, v40 offset:6000
	global_load_dwordx4 v[40:43], v[73:74], off offset:1176
	v_pack_b32_f16 v72, v166, v78
	global_load_dword v73, v[73:74], off offset:1192
	ds_write_b32 v123, v72 offset:7200
	v_pack_b32_f16 v72, v82, v177
	v_pack_b32_f16 v183, v173, v167
	ds_write_b32 v123, v72 offset:8400
	ds_read2_b32 v[166:167], v109 offset0:144 offset1:244
	v_pack_b32_f16 v72, v169, v178
	ds_read2_b32 v[168:169], v107 offset0:104 offset1:204
	ds_read2_b32 v[170:171], v106 offset0:64 offset1:164
	;; [unrolled: 1-line block ×3, first 2 shown]
	ds_write_b32 v123, v72 offset:9600
	v_pack_b32_f16 v72, v174, v80
	ds_read2_b32 v[174:175], v97 offset0:112 offset1:212
	ds_write_b32 v123, v72 offset:10800
	s_waitcnt lgkmcnt(6)
	v_lshrrev_b32_e32 v72, 16, v166
	v_mul_f16_sdwa v76, v166, v16 dst_sel:DWORD dst_unused:UNUSED_PAD src0_sel:DWORD src1_sel:WORD_1
	s_waitcnt lgkmcnt(5)
	v_lshrrev_b32_e32 v78, 16, v168
	v_fma_f16 v76, v72, v16, v76
	v_mul_f16_sdwa v72, v72, v16 dst_sel:DWORD dst_unused:UNUSED_PAD src0_sel:DWORD src1_sel:WORD_1
	v_mul_f16_sdwa v80, v168, v18 dst_sel:DWORD dst_unused:UNUSED_PAD src0_sel:DWORD src1_sel:WORD_1
	;; [unrolled: 1-line block ×3, first 2 shown]
	v_fma_f16 v72, v166, v16, -v72
	v_fma_f16 v80, v78, v18, v80
	v_fma_f16 v74, v168, v18, -v74
	s_waitcnt lgkmcnt(4)
	v_lshrrev_b32_e32 v78, 16, v170
	v_mul_f16_sdwa v82, v170, v8 dst_sel:DWORD dst_unused:UNUSED_PAD src0_sel:DWORD src1_sel:WORD_1
	s_waitcnt lgkmcnt(3)
	v_lshrrev_b32_e32 v166, 16, v172
	v_mul_f16_sdwa v168, v172, v10 dst_sel:DWORD dst_unused:UNUSED_PAD src0_sel:DWORD src1_sel:WORD_1
	v_fma_f16 v82, v78, v8, v82
	v_mul_f16_sdwa v78, v78, v8 dst_sel:DWORD dst_unused:UNUSED_PAD src0_sel:DWORD src1_sel:WORD_1
	v_fma_f16 v168, v166, v10, v168
	v_mul_f16_sdwa v166, v166, v10 dst_sel:DWORD dst_unused:UNUSED_PAD src0_sel:DWORD src1_sel:WORD_1
	v_fma_f16 v78, v170, v8, -v78
	v_fma_f16 v166, v172, v10, -v166
	s_waitcnt lgkmcnt(1)
	v_lshrrev_b32_e32 v170, 16, v174
	v_mul_f16_sdwa v172, v174, v152 dst_sel:DWORD dst_unused:UNUSED_PAD src0_sel:DWORD src1_sel:WORD_1
	v_fma_f16 v172, v170, v152, v172
	v_mul_f16_sdwa v170, v170, v152 dst_sel:DWORD dst_unused:UNUSED_PAD src0_sel:DWORD src1_sel:WORD_1
	v_add_f16_e32 v176, v181, v158
	v_add_f16_e32 v177, v72, v74
	v_add_f16_e32 v178, v76, v80
	v_fma_f16 v170, v174, v152, -v170
	v_add_f16_e32 v174, v182, v161
	v_add_f16_e32 v176, v176, v160
	;; [unrolled: 1-line block ×14, first 2 shown]
	v_pack_b32_f16 v182, v182, v184
	ds_write2_b32 v123, v183, v182 offset1:100
	v_lshrrev_b32_e32 v182, 16, v167
	s_waitcnt vmcnt(2)
	v_mul_f16_sdwa v183, v182, v44 dst_sel:DWORD dst_unused:UNUSED_PAD src0_sel:DWORD src1_sel:WORD_1
	v_fma_f16 v183, v167, v44, -v183
	v_mul_f16_sdwa v167, v167, v44 dst_sel:DWORD dst_unused:UNUSED_PAD src0_sel:DWORD src1_sel:WORD_1
	v_fma_f16 v167, v182, v44, v167
	v_lshrrev_b32_e32 v182, 16, v75
	v_mul_f16_sdwa v184, v182, v45 dst_sel:DWORD dst_unused:UNUSED_PAD src0_sel:DWORD src1_sel:WORD_1
	v_fma_f16 v184, v75, v45, -v184
	v_mul_f16_sdwa v75, v75, v45 dst_sel:DWORD dst_unused:UNUSED_PAD src0_sel:DWORD src1_sel:WORD_1
	v_fma_f16 v75, v182, v45, v75
	v_lshrrev_b32_e32 v182, 16, v169
	;; [unrolled: 5-line block ×4, first 2 shown]
	s_waitcnt vmcnt(1)
	v_mul_f16_sdwa v187, v182, v40 dst_sel:DWORD dst_unused:UNUSED_PAD src0_sel:DWORD src1_sel:WORD_1
	v_fma_f16 v187, v171, v40, -v187
	v_mul_f16_sdwa v171, v171, v40 dst_sel:DWORD dst_unused:UNUSED_PAD src0_sel:DWORD src1_sel:WORD_1
	v_fma_f16 v171, v182, v40, v171
	v_lshrrev_b32_e32 v182, 16, v79
	v_mul_f16_sdwa v188, v182, v41 dst_sel:DWORD dst_unused:UNUSED_PAD src0_sel:DWORD src1_sel:WORD_1
	v_fma_f16 v188, v79, v41, -v188
	v_mul_f16_sdwa v79, v79, v41 dst_sel:DWORD dst_unused:UNUSED_PAD src0_sel:DWORD src1_sel:WORD_1
	v_fma_f16 v79, v182, v41, v79
	v_lshrrev_b32_e32 v182, 16, v173
	;; [unrolled: 5-line block ×4, first 2 shown]
	s_waitcnt vmcnt(0)
	v_mul_f16_sdwa v191, v182, v73 dst_sel:DWORD dst_unused:UNUSED_PAD src0_sel:DWORD src1_sel:WORD_1
	v_fma_f16 v191, v175, v73, -v191
	v_mul_f16_sdwa v175, v175, v73 dst_sel:DWORD dst_unused:UNUSED_PAD src0_sel:DWORD src1_sel:WORD_1
	v_fma_f16 v175, v182, v73, v175
	v_sub_f16_e32 v182, v159, v161
	v_sub_f16_e32 v192, v165, v163
	v_add_f16_e32 v182, v182, v192
	v_sub_f16_e32 v192, v158, v160
	v_sub_f16_e32 v193, v164, v162
	v_add_f16_e32 v192, v192, v193
	;; [unrolled: 3-line block ×4, first 2 shown]
	v_add_f16_e32 v194, v194, v195
	v_add_f16_e32 v195, v78, v166
	v_fma_f16 v199, v199, -0.5, v76
	v_sub_f16_e32 v200, v74, v170
	v_fma_f16 v195, v195, -0.5, v72
	v_sub_f16_e32 v196, v80, v172
	v_fma_f16 v201, v200, s12, v199
	v_sub_f16_e32 v202, v78, v166
	v_fma_f16 v197, v196, s1, v195
	;; [unrolled: 2-line block ×3, first 2 shown]
	v_fma_f16 v197, v198, s0, v197
	v_fma_f16 v201, v194, s6, v201
	;; [unrolled: 1-line block ×3, first 2 shown]
	v_mul_f16_e32 v203, 0x38b4, v201
	v_fma_f16 v203, v197, s13, v203
	v_mul_f16_e32 v197, 0xb8b4, v197
	v_fma_f16 v197, v201, s13, v197
	v_sub_f16_e32 v201, v184, v186
	v_sub_f16_e32 v204, v190, v188
	v_add_f16_e32 v201, v201, v204
	v_sub_f16_e32 v204, v75, v77
	v_sub_f16_e32 v205, v81, v79
	v_add_f16_e32 v204, v204, v205
	;; [unrolled: 3-line block ×4, first 2 shown]
	v_add_f16_e32 v206, v206, v207
	v_add_f16_e32 v207, v187, v189
	v_fma_f16 v211, v211, -0.5, v167
	v_sub_f16_e32 v212, v185, v191
	v_fma_f16 v207, v207, -0.5, v183
	v_sub_f16_e32 v208, v169, v175
	v_fma_f16 v213, v212, s12, v211
	v_sub_f16_e32 v214, v187, v189
	v_fma_f16 v209, v208, s1, v207
	;; [unrolled: 2-line block ×3, first 2 shown]
	v_fma_f16 v209, v210, s0, v209
	v_fma_f16 v213, v206, s6, v213
	;; [unrolled: 1-line block ×3, first 2 shown]
	v_mul_f16_e32 v215, 0x38b4, v213
	v_fma_f16 v215, v209, s13, v215
	v_mul_f16_e32 v209, 0xb8b4, v209
	v_sub_f16_e32 v219, v159, v165
	v_sub_f16_e32 v221, v161, v163
	;; [unrolled: 1-line block ×4, first 2 shown]
	v_fma_f16 v209, v213, s13, v209
	v_sub_f16_e32 v213, v158, v164
	v_sub_f16_e32 v217, v160, v162
	v_add_f16_e32 v218, v160, v162
	v_add_f16_e32 v159, v159, v161
	;; [unrolled: 1-line block ×3, first 2 shown]
	v_sub_f16_e32 v158, v160, v158
	v_sub_f16_e32 v160, v162, v164
	;; [unrolled: 1-line block ×4, first 2 shown]
	v_fma_f16 v218, v218, -0.5, v181
	v_add_f16_e32 v158, v158, v160
	v_add_f16_e32 v160, v74, v170
	v_sub_f16_e32 v74, v78, v74
	v_sub_f16_e32 v78, v166, v170
	v_add_f16_e32 v162, v162, v163
	v_sub_f16_e32 v163, v77, v75
	v_sub_f16_e32 v164, v79, v81
	v_fma_f16 v216, v213, s1, v179
	v_fma_f16 v220, v219, s12, v218
	v_add_f16_e32 v74, v74, v78
	v_add_f16_e32 v78, v80, v172
	;; [unrolled: 1-line block ×3, first 2 shown]
	v_sub_f16_e32 v164, v187, v185
	v_sub_f16_e32 v165, v189, v191
	v_fma_f16 v216, v217, s0, v216
	v_fma_f16 v220, v221, s7, v220
	v_fma_f16 v76, v78, -0.5, v76
	v_add_f16_e32 v164, v164, v165
	v_sub_f16_e32 v165, v171, v169
	v_sub_f16_e32 v166, v173, v175
	v_add_f16_e32 v170, v169, v175
	v_fma_f16 v216, v182, s6, v216
	v_fma_f16 v220, v192, s6, v220
	v_fma_f16 v72, v160, -0.5, v72
	v_sub_f16_e32 v78, v82, v80
	v_sub_f16_e32 v80, v168, v172
	v_fma_f16 v82, v202, s1, v76
	v_add_f16_e32 v165, v165, v166
	v_add_f16_e32 v166, v185, v191
	v_fma_f16 v170, v170, -0.5, v167
	v_add_f16_e32 v222, v216, v203
	v_add_f16_e32 v223, v220, v197
	;; [unrolled: 1-line block ×3, first 2 shown]
	v_fma_f16 v80, v198, s12, v72
	v_fma_f16 v82, v200, s7, v82
	v_fma_f16 v166, v166, -0.5, v183
	v_fma_f16 v172, v214, s1, v170
	v_pack_b32_f16 v222, v222, v223
	v_add_f16_e32 v223, v186, v188
	v_lshrrev_b32_e32 v227, 16, v71
	v_add_f16_e32 v228, v77, v79
	v_fma_f16 v80, v196, s0, v80
	v_fma_f16 v82, v78, s6, v82
	;; [unrolled: 1-line block ×4, first 2 shown]
	v_fma_f16 v223, v223, -0.5, v71
	v_sub_f16_e32 v224, v75, v81
	v_fma_f16 v228, v228, -0.5, v227
	v_sub_f16_e32 v229, v184, v190
	v_fma_f16 v80, v74, s6, v80
	v_mul_f16_e32 v160, 0x3b9c, v82
	v_fma_f16 v168, v208, s0, v168
	v_fma_f16 v172, v165, s6, v172
	;; [unrolled: 1-line block ×3, first 2 shown]
	v_sub_f16_e32 v226, v77, v79
	v_fma_f16 v230, v229, s12, v228
	v_sub_f16_e32 v231, v186, v188
	v_fma_f16 v161, v161, -0.5, v181
	v_fma_f16 v160, v80, s6, v160
	v_mul_f16_e32 v80, 0xbb9c, v80
	v_fma_f16 v168, v164, s6, v168
	v_mul_f16_e32 v181, 0x3b9c, v172
	v_fma_f16 v72, v198, s1, v72
	v_fma_f16 v225, v226, s0, v225
	;; [unrolled: 1-line block ×4, first 2 shown]
	v_add_f16_e32 v82, v184, v190
	v_fma_f16 v181, v168, s6, v181
	v_mul_f16_e32 v168, 0xbb9c, v168
	v_fma_f16 v72, v196, s7, v72
	v_fma_f16 v225, v201, s6, v225
	;; [unrolled: 1-line block ×3, first 2 shown]
	v_fma_f16 v82, v82, -0.5, v71
	v_add_f16_e32 v71, v71, v184
	v_fma_f16 v168, v172, s6, v168
	v_fma_f16 v172, v217, s12, v180
	;; [unrolled: 1-line block ×5, first 2 shown]
	v_add_f16_e32 v232, v225, v215
	v_add_f16_e32 v233, v230, v209
	v_fma_f16 v172, v213, s0, v172
	v_fma_f16 v184, v219, s7, v184
	v_fma_f16 v74, v200, s0, v74
	v_pack_b32_f16 v232, v232, v233
	v_fma_f16 v172, v159, s6, v172
	v_fma_f16 v184, v158, s6, v184
	v_fma_f16 v74, v78, s6, v74
	v_mul_f16_e32 v76, 0xb4f2, v72
	ds_write2_b32 v109, v222, v232 offset0:144 offset1:244
	v_add_f16_e32 v222, v172, v160
	v_add_f16_e32 v232, v184, v80
	v_fma_f16 v161, v221, s12, v161
	v_fma_f16 v76, v74, s1, v76
	v_mul_f16_e32 v74, 0xb4f2, v74
	v_pack_b32_f16 v222, v222, v232
	v_fma_f16 v232, v226, s12, v82
	v_fma_f16 v161, v219, s0, v161
	;; [unrolled: 1-line block ×5, first 2 shown]
	v_add_f16_e32 v233, v75, v81
	v_fma_f16 v158, v158, s6, v161
	v_fma_f16 v82, v208, s7, v82
	;; [unrolled: 1-line block ×4, first 2 shown]
	v_fma_f16 v233, v233, -0.5, v227
	v_fma_f16 v180, v217, s1, v180
	v_fma_f16 v74, v224, s7, v74
	;; [unrolled: 1-line block ×10, first 2 shown]
	v_mul_f16_e32 v162, 0xb4f2, v82
	v_fma_f16 v234, v229, s7, v234
	v_fma_f16 v159, v159, s6, v180
	;; [unrolled: 1-line block ×4, first 2 shown]
	v_mul_f16_e32 v161, 0xb4f2, v161
	v_fma_f16 v234, v163, s6, v234
	v_fma_f16 v78, v163, s6, v78
	;; [unrolled: 1-line block ×3, first 2 shown]
	v_add_f16_e32 v161, v159, v76
	v_add_f16_e32 v163, v158, v72
	v_pack_b32_f16 v161, v161, v163
	v_add_f16_e32 v163, v74, v162
	v_add_f16_e32 v164, v78, v82
	v_pack_b32_f16 v163, v163, v164
	v_fma_f16 v164, v196, s12, v195
	v_add_f16_e32 v75, v227, v75
	v_fma_f16 v164, v198, s7, v164
	v_fma_f16 v165, v200, s1, v199
	v_add_f16_e32 v75, v75, v77
	ds_write2_b32 v107, v161, v163 offset0:104 offset1:204
	v_fma_f16 v161, v213, s12, v179
	v_fma_f16 v164, v193, s6, v164
	;; [unrolled: 1-line block ×4, first 2 shown]
	v_add_f16_e32 v75, v75, v79
	v_add_f16_e32 v77, v183, v185
	;; [unrolled: 1-line block ×3, first 2 shown]
	v_fma_f16 v165, v194, s6, v165
	v_mul_f16_e32 v166, 0xba79, v164
	v_fma_f16 v179, v210, s7, v179
	v_fma_f16 v180, v212, s1, v211
	v_add_f16_e32 v71, v71, v186
	v_add_f16_e32 v77, v77, v187
	;; [unrolled: 1-line block ×3, first 2 shown]
	v_fma_f16 v161, v217, s7, v161
	v_fma_f16 v166, v165, s0, v166
	v_mul_f16_e32 v165, 0xba79, v165
	v_fma_f16 v179, v205, s6, v179
	v_fma_f16 v180, v214, s0, v180
	v_add_f16_e32 v71, v71, v188
	v_add_f16_e32 v77, v77, v189
	;; [unrolled: 1-line block ×3, first 2 shown]
	v_fma_f16 v161, v182, s6, v161
	v_fma_f16 v163, v219, s1, v218
	;; [unrolled: 1-line block ×6, first 2 shown]
	v_mul_f16_e32 v182, 0xba79, v179
	v_add_f16_e32 v71, v71, v190
	v_add_f16_e32 v75, v75, v81
	;; [unrolled: 1-line block ×4, first 2 shown]
	v_fma_f16 v163, v221, s0, v163
	v_fma_f16 v165, v226, s7, v165
	;; [unrolled: 1-line block ×4, first 2 shown]
	v_mul_f16_e32 v180, 0xba79, v180
	v_sub_f16_e32 v174, v174, v177
	v_sub_f16_e32 v176, v176, v178
	;; [unrolled: 1-line block ×8, first 2 shown]
	v_fma_f16 v163, v192, s6, v163
	v_fma_f16 v165, v201, s6, v165
	;; [unrolled: 1-line block ×4, first 2 shown]
	v_pack_b32_f16 v81, v174, v176
	v_pack_b32_f16 v167, v167, v169
	;; [unrolled: 1-line block ×4, first 2 shown]
	ds_write2_b32 v106, v81, v167 offset0:64 offset1:164
	v_sub_f16_e32 v81, v216, v203
	v_sub_f16_e32 v167, v220, v197
	;; [unrolled: 1-line block ×4, first 2 shown]
	ds_write2_b32 v130, v72, v74 offset0:68 offset1:168
	v_sub_f16_e32 v72, v161, v166
	v_sub_f16_e32 v74, v163, v164
	;; [unrolled: 1-line block ×4, first 2 shown]
	v_add_f16_e32 v180, v161, v166
	v_add_f16_e32 v192, v163, v164
	v_pack_b32_f16 v81, v81, v167
	v_pack_b32_f16 v167, v169, v171
	;; [unrolled: 1-line block ×4, first 2 shown]
	v_add_f16_e32 v235, v232, v181
	v_add_f16_e32 v236, v234, v168
	v_pack_b32_f16 v180, v180, v192
	v_add_f16_e32 v192, v165, v182
	v_add_f16_e32 v193, v170, v179
	ds_write2_b32 v124, v81, v167 offset0:108 offset1:208
	v_sub_f16_e32 v81, v172, v160
	v_sub_f16_e32 v80, v184, v80
	;; [unrolled: 1-line block ×4, first 2 shown]
	ds_write2_b32 v97, v72, v74 offset0:112 offset1:212
	v_add_f16_e32 v71, v71, v77
	v_add_f16_e32 v72, v75, v79
	v_pack_b32_f16 v235, v235, v236
	v_pack_b32_f16 v192, v192, v193
	;; [unrolled: 1-line block ×5, first 2 shown]
	ds_write2_b32 v129, v222, v235 offset0:60 offset1:160
	ds_write2_b32 v125, v180, v192 offset0:20 offset1:120
	;; [unrolled: 1-line block ×3, first 2 shown]
	ds_write_b32 v123, v71 offset:800
	s_waitcnt lgkmcnt(0)
	s_barrier
	global_load_dword v69, v[69:70], off offset:3808
	v_add_co_u32_e32 v70, vcc, s2, v132
	v_addc_co_u32_e32 v71, vcc, 0, v133, vcc
	global_load_dword v72, v[70:71], off offset:1616
	global_load_dword v82, v[70:71], off offset:2016
	s_movk_i32 s2, 0x2ee0
	v_add_co_u32_e32 v74, vcc, s2, v132
	v_addc_co_u32_e32 v75, vcc, 0, v133, vcc
	global_load_dword v158, v[74:75], off offset:2400
	global_load_dword v163, v[74:75], off offset:2800
	;; [unrolled: 1-line block ×8, first 2 shown]
	ds_read2_b32 v[76:77], v123 offset1:100
	global_load_dword v168, v[70:71], off offset:2816
	global_load_dword v169, v[74:75], off offset:400
	;; [unrolled: 1-line block ×3, first 2 shown]
	s_movk_i32 s2, 0x5000
	v_add_co_u32_e32 v80, vcc, s2, v132
	s_waitcnt lgkmcnt(0)
	v_lshrrev_b32_e32 v78, 16, v76
	v_addc_co_u32_e32 v81, vcc, 0, v133, vcc
	s_mov_b32 s2, 0xb4f2
	s_waitcnt vmcnt(13)
	v_mul_f16_sdwa v79, v76, v69 dst_sel:DWORD dst_unused:UNUSED_PAD src0_sel:DWORD src1_sel:WORD_1
	v_fma_f16 v79, v78, v69, v79
	v_mul_f16_sdwa v78, v78, v69 dst_sel:DWORD dst_unused:UNUSED_PAD src0_sel:DWORD src1_sel:WORD_1
	v_fma_f16 v69, v76, v69, -v78
	v_pack_b32_f16 v69, v69, v79
	ds_write_b32 v123, v69
	ds_read2_b32 v[78:79], v125 offset0:120 offset1:220
	global_load_dword v76, v[80:81], off offset:1120
	global_load_dword v171, v[74:75], off offset:1600
	global_load_dword v172, v[74:75], off offset:1200
	global_load_dword v173, v[80:81], off offset:720
	ds_read2_b32 v[132:133], v106 offset0:64 offset1:164
	global_load_dword v174, v[70:71], off offset:3216
	global_load_dword v175, v[80:81], off offset:320
	;; [unrolled: 1-line block ×4, first 2 shown]
	s_waitcnt lgkmcnt(1)
	v_lshrrev_b32_e32 v69, 16, v79
	s_waitcnt vmcnt(20)
	v_mul_f16_sdwa v160, v79, v72 dst_sel:DWORD dst_unused:UNUSED_PAD src0_sel:DWORD src1_sel:WORD_1
	v_fma_f16 v160, v69, v72, v160
	v_mul_f16_sdwa v69, v69, v72 dst_sel:DWORD dst_unused:UNUSED_PAD src0_sel:DWORD src1_sel:WORD_1
	v_fma_f16 v69, v79, v72, -v69
	v_pack_b32_f16 v72, v69, v160
	s_waitcnt lgkmcnt(0)
	v_lshrrev_b32_e32 v69, 16, v132
	s_waitcnt vmcnt(19)
	v_mul_f16_sdwa v70, v132, v82 dst_sel:DWORD dst_unused:UNUSED_PAD src0_sel:DWORD src1_sel:WORD_1
	v_fma_f16 v71, v69, v82, v70
	v_mul_f16_sdwa v79, v69, v82 dst_sel:DWORD dst_unused:UNUSED_PAD src0_sel:DWORD src1_sel:WORD_1
	ds_read2_b32 v[69:70], v128 offset0:88 offset1:188
	v_fma_f16 v79, v132, v82, -v79
	v_pack_b32_f16 v71, v79, v71
	v_add_u32_e32 v79, 0x1600, v123
	ds_write2_b32 v79, v72, v71 offset0:92 offset1:192
	ds_read2_b32 v[71:72], v109 offset0:144 offset1:244
	s_waitcnt lgkmcnt(2)
	v_lshrrev_b32_e32 v79, 16, v69
	s_waitcnt vmcnt(18)
	v_mul_f16_sdwa v82, v69, v158 dst_sel:DWORD dst_unused:UNUSED_PAD src0_sel:DWORD src1_sel:WORD_1
	v_fma_f16 v82, v79, v158, v82
	v_mul_f16_sdwa v79, v79, v158 dst_sel:DWORD dst_unused:UNUSED_PAD src0_sel:DWORD src1_sel:WORD_1
	v_fma_f16 v69, v69, v158, -v79
	v_pack_b32_f16 v69, v69, v82
	s_waitcnt lgkmcnt(0)
	v_lshrrev_b32_e32 v79, 16, v72
	s_waitcnt vmcnt(16)
	v_mul_f16_sdwa v82, v72, v159 dst_sel:DWORD dst_unused:UNUSED_PAD src0_sel:DWORD src1_sel:WORD_1
	v_fma_f16 v82, v79, v159, v82
	v_mul_f16_sdwa v79, v79, v159 dst_sel:DWORD dst_unused:UNUSED_PAD src0_sel:DWORD src1_sel:WORD_1
	v_fma_f16 v72, v72, v159, -v79
	v_pack_b32_f16 v72, v72, v82
	v_add_u32_e32 v79, 0x600, v123
	ds_write2_b32 v79, v72, v69 offset0:116 offset1:216
	global_load_dword v72, v[74:75], off offset:4000
	global_load_dword v82, v[74:75], off offset:3600
	ds_read2_b32 v[158:159], v126 offset0:48 offset1:148
	ds_read2_b32 v[160:161], v107 offset0:104 offset1:204
	s_waitcnt lgkmcnt(1)
	v_lshrrev_b32_e32 v69, 16, v158
	s_waitcnt vmcnt(17)
	v_mul_f16_sdwa v79, v158, v162 dst_sel:DWORD dst_unused:UNUSED_PAD src0_sel:DWORD src1_sel:WORD_1
	v_fma_f16 v79, v69, v162, v79
	v_mul_f16_sdwa v69, v69, v162 dst_sel:DWORD dst_unused:UNUSED_PAD src0_sel:DWORD src1_sel:WORD_1
	v_fma_f16 v69, v158, v162, -v69
	v_pack_b32_f16 v69, v69, v79
	s_waitcnt lgkmcnt(0)
	v_lshrrev_b32_e32 v79, 16, v161
	s_waitcnt vmcnt(14)
	v_mul_f16_sdwa v132, v161, v166 dst_sel:DWORD dst_unused:UNUSED_PAD src0_sel:DWORD src1_sel:WORD_1
	v_fma_f16 v132, v79, v166, v132
	v_mul_f16_sdwa v79, v79, v166 dst_sel:DWORD dst_unused:UNUSED_PAD src0_sel:DWORD src1_sel:WORD_1
	v_fma_f16 v79, v161, v166, -v79
	ds_read2_b32 v[161:162], v124 offset0:8 offset1:108
	v_pack_b32_f16 v79, v79, v132
	v_add_u32_e32 v132, 0x1000, v123
	ds_write2_b32 v132, v79, v69 offset0:76 offset1:176
	v_lshrrev_b32_e32 v69, 16, v133
	s_waitcnt vmcnt(13)
	v_mul_f16_sdwa v79, v69, v167 dst_sel:DWORD dst_unused:UNUSED_PAD src0_sel:DWORD src1_sel:WORD_1
	v_mul_f16_sdwa v132, v133, v167 dst_sel:DWORD dst_unused:UNUSED_PAD src0_sel:DWORD src1_sel:WORD_1
	v_fma_f16 v79, v133, v167, -v79
	v_fma_f16 v69, v69, v167, v132
	s_waitcnt lgkmcnt(1)
	v_lshrrev_b32_e32 v132, 16, v161
	s_waitcnt vmcnt(12)
	v_mul_f16_sdwa v133, v161, v168 dst_sel:DWORD dst_unused:UNUSED_PAD src0_sel:DWORD src1_sel:WORD_1
	v_fma_f16 v158, v132, v168, v133
	v_mul_f16_sdwa v132, v132, v168 dst_sel:DWORD dst_unused:UNUSED_PAD src0_sel:DWORD src1_sel:WORD_1
	v_fma_f16 v161, v161, v168, -v132
	v_pack_b32_f16 v158, v161, v158
	v_pack_b32_f16 v69, v79, v69
	v_add_u32_e32 v79, 0x1a00, v123
	ds_read2_b32 v[132:133], v120 offset0:96 offset1:196
	ds_write2_b32 v79, v69, v158 offset0:36 offset1:136
	global_load_dword v158, v[80:81], off offset:1520
	global_load_dword v161, v[80:81], off offset:2720
	;; [unrolled: 1-line block ×4, first 2 shown]
	s_nop 0
	global_load_dword v81, v[80:81], off offset:1920
	ds_read2_b32 v[79:80], v103 offset0:152 offset1:252
	s_waitcnt lgkmcnt(2)
	v_lshrrev_b32_e32 v69, 16, v132
	s_waitcnt vmcnt(14)
	v_mul_f16_sdwa v168, v132, v76 dst_sel:DWORD dst_unused:UNUSED_PAD src0_sel:DWORD src1_sel:WORD_1
	v_fma_f16 v168, v69, v76, v168
	v_mul_f16_sdwa v69, v69, v76 dst_sel:DWORD dst_unused:UNUSED_PAD src0_sel:DWORD src1_sel:WORD_1
	v_fma_f16 v69, v132, v76, -v69
	s_waitcnt lgkmcnt(0)
	v_lshrrev_b32_e32 v76, 16, v80
	s_waitcnt vmcnt(11)
	v_mul_f16_sdwa v132, v80, v173 dst_sel:DWORD dst_unused:UNUSED_PAD src0_sel:DWORD src1_sel:WORD_1
	v_fma_f16 v132, v76, v173, v132
	v_mul_f16_sdwa v76, v76, v173 dst_sel:DWORD dst_unused:UNUSED_PAD src0_sel:DWORD src1_sel:WORD_1
	v_fma_f16 v76, v80, v173, -v76
	v_pack_b32_f16 v69, v69, v168
	v_pack_b32_f16 v76, v76, v132
	v_add_u32_e32 v80, 0x2200, v123
	ds_write2_b32 v80, v76, v69 offset0:124 offset1:224
	v_lshrrev_b32_e32 v69, 16, v77
	v_mul_f16_sdwa v76, v69, v169 dst_sel:DWORD dst_unused:UNUSED_PAD src0_sel:DWORD src1_sel:WORD_1
	v_fma_f16 v80, v77, v169, -v76
	v_mul_f16_sdwa v76, v77, v169 dst_sel:DWORD dst_unused:UNUSED_PAD src0_sel:DWORD src1_sel:WORD_1
	v_fma_f16 v132, v69, v169, v76
	global_load_dword v169, v[74:75], off offset:3200
	ds_read2_b32 v[76:77], v131 offset0:72 offset1:172
	v_lshrrev_b32_e32 v69, 16, v71
	v_mul_f16_sdwa v168, v69, v171 dst_sel:DWORD dst_unused:UNUSED_PAD src0_sel:DWORD src1_sel:WORD_1
	v_fma_f16 v168, v71, v171, -v168
	v_mul_f16_sdwa v71, v71, v171 dst_sel:DWORD dst_unused:UNUSED_PAD src0_sel:DWORD src1_sel:WORD_1
	v_fma_f16 v69, v69, v171, v71
	s_waitcnt lgkmcnt(0)
	v_lshrrev_b32_e32 v71, 16, v77
	v_mul_f16_sdwa v74, v77, v172 dst_sel:DWORD dst_unused:UNUSED_PAD src0_sel:DWORD src1_sel:WORD_1
	v_fma_f16 v74, v71, v172, v74
	v_mul_f16_sdwa v71, v71, v172 dst_sel:DWORD dst_unused:UNUSED_PAD src0_sel:DWORD src1_sel:WORD_1
	v_fma_f16 v71, v77, v172, -v71
	v_pack_b32_f16 v71, v71, v74
	v_pack_b32_f16 v69, v168, v69
	ds_write2_b32 v109, v71, v69 offset0:44 offset1:144
	v_lshrrev_b32_e32 v69, 16, v70
	v_mul_f16_sdwa v71, v69, v163 dst_sel:DWORD dst_unused:UNUSED_PAD src0_sel:DWORD src1_sel:WORD_1
	v_fma_f16 v77, v70, v163, -v71
	v_mul_f16_sdwa v70, v70, v163 dst_sel:DWORD dst_unused:UNUSED_PAD src0_sel:DWORD src1_sel:WORD_1
	v_fma_f16 v163, v69, v163, v70
	ds_read2_b32 v[69:70], v127 offset0:32 offset1:132
	v_lshrrev_b32_e32 v71, 16, v160
	s_waitcnt vmcnt(7)
	v_mul_f16_sdwa v74, v71, v72 dst_sel:DWORD dst_unused:UNUSED_PAD src0_sel:DWORD src1_sel:WORD_1
	v_mul_f16_sdwa v75, v160, v72 dst_sel:DWORD dst_unused:UNUSED_PAD src0_sel:DWORD src1_sel:WORD_1
	v_fma_f16 v74, v160, v72, -v74
	v_fma_f16 v71, v71, v72, v75
	s_waitcnt lgkmcnt(0)
	v_lshrrev_b32_e32 v72, 16, v70
	s_waitcnt vmcnt(6)
	v_mul_f16_sdwa v75, v70, v82 dst_sel:DWORD dst_unused:UNUSED_PAD src0_sel:DWORD src1_sel:WORD_1
	v_fma_f16 v75, v72, v82, v75
	v_mul_f16_sdwa v72, v72, v82 dst_sel:DWORD dst_unused:UNUSED_PAD src0_sel:DWORD src1_sel:WORD_1
	v_fma_f16 v70, v70, v82, -v72
	v_pack_b32_f16 v70, v70, v75
	v_pack_b32_f16 v71, v74, v71
	ds_write2_b32 v127, v70, v71 offset0:132 offset1:232
	v_lshrrev_b32_e32 v70, 16, v159
	v_mul_f16_sdwa v71, v70, v164 dst_sel:DWORD dst_unused:UNUSED_PAD src0_sel:DWORD src1_sel:WORD_1
	v_fma_f16 v82, v159, v164, -v71
	v_mul_f16_sdwa v71, v159, v164 dst_sel:DWORD dst_unused:UNUSED_PAD src0_sel:DWORD src1_sel:WORD_1
	v_fma_f16 v159, v70, v164, v71
	v_lshrrev_b32_e32 v70, 16, v162
	v_mul_f16_sdwa v71, v70, v174 dst_sel:DWORD dst_unused:UNUSED_PAD src0_sel:DWORD src1_sel:WORD_1
	v_fma_f16 v160, v162, v174, -v71
	v_mul_f16_sdwa v71, v162, v174 dst_sel:DWORD dst_unused:UNUSED_PAD src0_sel:DWORD src1_sel:WORD_1
	v_fma_f16 v162, v70, v174, v71
	ds_read2_b32 v[70:71], v122 offset0:80 offset1:180
	v_lshrrev_b32_e32 v72, 16, v79
	v_mul_f16_sdwa v74, v72, v175 dst_sel:DWORD dst_unused:UNUSED_PAD src0_sel:DWORD src1_sel:WORD_1
	v_mul_f16_sdwa v75, v79, v175 dst_sel:DWORD dst_unused:UNUSED_PAD src0_sel:DWORD src1_sel:WORD_1
	v_fma_f16 v74, v79, v175, -v74
	v_fma_f16 v72, v72, v175, v75
	s_waitcnt lgkmcnt(0)
	v_lshrrev_b32_e32 v75, 16, v71
	v_mul_f16_sdwa v79, v71, v176 dst_sel:DWORD dst_unused:UNUSED_PAD src0_sel:DWORD src1_sel:WORD_1
	v_fma_f16 v79, v75, v176, v79
	v_mul_f16_sdwa v75, v75, v176 dst_sel:DWORD dst_unused:UNUSED_PAD src0_sel:DWORD src1_sel:WORD_1
	v_fma_f16 v71, v71, v176, -v75
	v_pack_b32_f16 v71, v71, v79
	v_pack_b32_f16 v72, v74, v72
	ds_write2_b32 v103, v71, v72 offset0:52 offset1:152
	v_lshrrev_b32_e32 v74, 16, v133
	ds_read2_b32 v[71:72], v117 offset0:40 offset1:140
	s_waitcnt vmcnt(5)
	v_mul_f16_sdwa v75, v74, v158 dst_sel:DWORD dst_unused:UNUSED_PAD src0_sel:DWORD src1_sel:WORD_1
	v_fma_f16 v79, v133, v158, -v75
	v_mul_f16_sdwa v75, v133, v158 dst_sel:DWORD dst_unused:UNUSED_PAD src0_sel:DWORD src1_sel:WORD_1
	v_fma_f16 v133, v74, v158, v75
	ds_read2_b32 v[74:75], v97 offset0:112 offset1:212
	s_waitcnt lgkmcnt(1)
	v_lshrrev_b32_e32 v158, 16, v72
	s_waitcnt vmcnt(2)
	v_mul_f16_sdwa v164, v72, v167 dst_sel:DWORD dst_unused:UNUSED_PAD src0_sel:DWORD src1_sel:WORD_1
	v_fma_f16 v164, v158, v167, v164
	v_mul_f16_sdwa v158, v158, v167 dst_sel:DWORD dst_unused:UNUSED_PAD src0_sel:DWORD src1_sel:WORD_1
	v_fma_f16 v72, v72, v167, -v158
	v_pack_b32_f16 v72, v72, v164
	s_waitcnt lgkmcnt(0)
	v_lshrrev_b32_e32 v158, 16, v74
	v_mul_f16_sdwa v164, v74, v161 dst_sel:DWORD dst_unused:UNUSED_PAD src0_sel:DWORD src1_sel:WORD_1
	v_fma_f16 v164, v158, v161, v164
	v_mul_f16_sdwa v158, v158, v161 dst_sel:DWORD dst_unused:UNUSED_PAD src0_sel:DWORD src1_sel:WORD_1
	v_fma_f16 v74, v74, v161, -v158
	v_pack_b32_f16 v74, v74, v164
	ds_write2_b32 v117, v72, v74 offset0:140 offset1:240
	v_lshrrev_b32_e32 v72, 16, v76
	v_mul_f16_sdwa v74, v72, v170 dst_sel:DWORD dst_unused:UNUSED_PAD src0_sel:DWORD src1_sel:WORD_1
	v_fma_f16 v74, v76, v170, -v74
	v_mul_f16_sdwa v76, v76, v170 dst_sel:DWORD dst_unused:UNUSED_PAD src0_sel:DWORD src1_sel:WORD_1
	v_fma_f16 v72, v72, v170, v76
	v_pack_b32_f16 v76, v80, v132
	v_pack_b32_f16 v72, v74, v72
	ds_write2_b32 v123, v76, v72 offset0:100 offset1:200
	v_lshrrev_b32_e32 v72, 16, v69
	s_waitcnt vmcnt(0)
	v_mul_f16_sdwa v74, v72, v169 dst_sel:DWORD dst_unused:UNUSED_PAD src0_sel:DWORD src1_sel:WORD_1
	v_fma_f16 v74, v69, v169, -v74
	v_mul_f16_sdwa v69, v69, v169 dst_sel:DWORD dst_unused:UNUSED_PAD src0_sel:DWORD src1_sel:WORD_1
	v_fma_f16 v69, v72, v169, v69
	v_pack_b32_f16 v72, v77, v163
	v_pack_b32_f16 v69, v74, v69
	ds_write2_b32 v129, v72, v69 offset0:60 offset1:160
	v_lshrrev_b32_e32 v69, 16, v78
	v_mul_f16_sdwa v72, v69, v165 dst_sel:DWORD dst_unused:UNUSED_PAD src0_sel:DWORD src1_sel:WORD_1
	v_mul_f16_sdwa v74, v78, v165 dst_sel:DWORD dst_unused:UNUSED_PAD src0_sel:DWORD src1_sel:WORD_1
	v_fma_f16 v72, v78, v165, -v72
	v_fma_f16 v69, v69, v165, v74
	v_pack_b32_f16 v74, v82, v159
	v_pack_b32_f16 v69, v72, v69
	ds_write2_b32 v125, v74, v69 offset0:20 offset1:120
	v_lshrrev_b32_e32 v69, 16, v70
	v_mul_f16_sdwa v72, v69, v177 dst_sel:DWORD dst_unused:UNUSED_PAD src0_sel:DWORD src1_sel:WORD_1
	v_fma_f16 v72, v70, v177, -v72
	v_mul_f16_sdwa v70, v70, v177 dst_sel:DWORD dst_unused:UNUSED_PAD src0_sel:DWORD src1_sel:WORD_1
	v_fma_f16 v69, v69, v177, v70
	v_pack_b32_f16 v70, v160, v162
	v_pack_b32_f16 v69, v72, v69
	ds_write2_b32 v124, v70, v69 offset0:108 offset1:208
	v_lshrrev_b32_e32 v69, 16, v71
	v_mul_f16_sdwa v70, v69, v81 dst_sel:DWORD dst_unused:UNUSED_PAD src0_sel:DWORD src1_sel:WORD_1
	v_fma_f16 v70, v71, v81, -v70
	v_mul_f16_sdwa v71, v71, v81 dst_sel:DWORD dst_unused:UNUSED_PAD src0_sel:DWORD src1_sel:WORD_1
	v_fma_f16 v69, v69, v81, v71
	v_pack_b32_f16 v71, v79, v133
	v_pack_b32_f16 v69, v70, v69
	ds_write2_b32 v130, v71, v69 offset0:68 offset1:168
	v_lshrrev_b32_e32 v69, 16, v75
	v_mul_f16_sdwa v70, v69, v166 dst_sel:DWORD dst_unused:UNUSED_PAD src0_sel:DWORD src1_sel:WORD_1
	v_mul_f16_sdwa v71, v75, v166 dst_sel:DWORD dst_unused:UNUSED_PAD src0_sel:DWORD src1_sel:WORD_1
	v_fma_f16 v70, v75, v166, -v70
	v_fma_f16 v69, v69, v166, v71
	v_pack_b32_f16 v69, v70, v69
	ds_write_b32 v123, v69 offset:11600
	s_waitcnt lgkmcnt(0)
	s_barrier
	ds_read2_b32 v[69:70], v124 offset0:8 offset1:108
	ds_read2_b32 v[71:72], v120 offset0:96 offset1:196
	;; [unrolled: 1-line block ×4, first 2 shown]
	ds_read2_b32 v[78:79], v123 offset1:100
	s_waitcnt lgkmcnt(3)
	v_sub_f16_e32 v80, v69, v71
	s_waitcnt lgkmcnt(2)
	v_sub_f16_sdwa v176, v74, v71 dst_sel:DWORD dst_unused:UNUSED_PAD src0_sel:WORD_1 src1_sel:WORD_1
	s_waitcnt lgkmcnt(1)
	v_sub_f16_e32 v81, v76, v74
	v_add_f16_e32 v80, v81, v80
	v_add_f16_e32 v81, v74, v71
	s_waitcnt lgkmcnt(0)
	v_fma_f16 v81, v81, -0.5, v78
	v_sub_f16_sdwa v177, v76, v69 dst_sel:DWORD dst_unused:UNUSED_PAD src0_sel:WORD_1 src1_sel:WORD_1
	v_fma_f16 v82, v177, s1, v81
	v_fma_f16 v81, v177, s12, v81
	;; [unrolled: 1-line block ×6, first 2 shown]
	v_sub_f16_sdwa v80, v76, v74 dst_sel:DWORD dst_unused:UNUSED_PAD src0_sel:WORD_1 src1_sel:WORD_1
	v_sub_f16_sdwa v81, v69, v71 dst_sel:DWORD dst_unused:UNUSED_PAD src0_sel:WORD_1 src1_sel:WORD_1
	v_add_f16_e32 v82, v80, v81
	v_lshrrev_b32_e32 v166, 16, v78
	v_add_f16_sdwa v80, v74, v71 dst_sel:DWORD dst_unused:UNUSED_PAD src0_sel:WORD_1 src1_sel:WORD_1
	v_fma_f16 v80, v80, -0.5, v166
	v_sub_f16_e32 v181, v76, v69
	v_sub_f16_e32 v180, v74, v71
	v_fma_f16 v81, v181, s12, v80
	v_fma_f16 v81, v180, s0, v81
	;; [unrolled: 1-line block ×4, first 2 shown]
	ds_read2_b32 v[80:81], v122 offset0:80 offset1:180
	ds_read2_b32 v[132:133], v117 offset0:40 offset1:140
	;; [unrolled: 1-line block ×4, first 2 shown]
	v_fma_f16 v162, v180, s7, v162
	v_fma_f16 v183, v82, s6, v162
	ds_read2_b32 v[162:163], v131 offset0:72 offset1:172
	s_waitcnt lgkmcnt(3)
	v_sub_f16_e32 v82, v81, v133
	s_waitcnt lgkmcnt(1)
	v_sub_f16_e32 v164, v161, v159
	v_add_f16_e32 v82, v164, v82
	v_add_f16_e32 v164, v159, v133
	s_waitcnt lgkmcnt(0)
	v_fma_f16 v164, v164, -0.5, v163
	v_sub_f16_sdwa v185, v161, v81 dst_sel:DWORD dst_unused:UNUSED_PAD src0_sel:WORD_1 src1_sel:WORD_1
	v_sub_f16_sdwa v184, v159, v133 dst_sel:DWORD dst_unused:UNUSED_PAD src0_sel:WORD_1 src1_sel:WORD_1
	v_fma_f16 v165, v185, s1, v164
	v_fma_f16 v164, v185, s12, v164
	v_fma_f16 v165, v184, s7, v165
	v_fma_f16 v164, v184, s0, v164
	v_fma_f16 v165, v82, s6, v165
	v_fma_f16 v82, v82, s6, v164
	v_sub_f16_sdwa v164, v161, v159 dst_sel:DWORD dst_unused:UNUSED_PAD src0_sel:WORD_1 src1_sel:WORD_1
	v_sub_f16_sdwa v167, v81, v133 dst_sel:DWORD dst_unused:UNUSED_PAD src0_sel:WORD_1 src1_sel:WORD_1
	v_add_f16_e32 v164, v164, v167
	v_lshrrev_b32_e32 v167, 16, v163
	v_add_f16_sdwa v168, v159, v133 dst_sel:DWORD dst_unused:UNUSED_PAD src0_sel:WORD_1 src1_sel:WORD_1
	v_fma_f16 v168, v168, -0.5, v167
	v_sub_f16_e32 v187, v161, v81
	v_sub_f16_e32 v186, v159, v133
	v_fma_f16 v169, v187, s12, v168
	v_fma_f16 v169, v186, s0, v169
	v_fma_f16 v168, v187, s1, v168
	v_fma_f16 v169, v164, s6, v169
	v_fma_f16 v168, v186, s7, v168
	v_fma_f16 v164, v164, s6, v168
	v_mul_f16_e32 v168, 0xbb9c, v169
	v_fma_f16 v188, v165, s6, v168
	v_mul_f16_e32 v168, 0x34f2, v169
	v_fma_f16 v189, v165, s1, v168
	v_mul_f16_e32 v165, 0xbb9c, v164
	v_mul_f16_e32 v164, 0xb4f2, v164
	v_fma_f16 v190, v82, s2, v165
	v_fma_f16 v191, v82, s1, v164
	v_add_f16_e32 v82, v179, v190
	v_add_f16_e32 v164, v183, v191
	v_pack_b32_f16 v165, v82, v164
	v_add_f16_e32 v82, v178, v188
	v_add_f16_e32 v164, v182, v189
	v_pack_b32_f16 v164, v82, v164
	v_sub_f16_e32 v82, v71, v69
	v_sub_f16_e32 v168, v74, v76
	v_add_f16_e32 v192, v168, v82
	v_add_f16_sdwa v82, v76, v69 dst_sel:DWORD dst_unused:UNUSED_PAD src0_sel:WORD_1 src1_sel:WORD_1
	v_fma_f16 v193, v82, -0.5, v166
	v_sub_f16_sdwa v82, v74, v76 dst_sel:DWORD dst_unused:UNUSED_PAD src0_sel:WORD_1 src1_sel:WORD_1
	v_sub_f16_sdwa v166, v71, v69 dst_sel:DWORD dst_unused:UNUSED_PAD src0_sel:WORD_1 src1_sel:WORD_1
	v_add_f16_e32 v194, v82, v166
	v_sub_f16_e32 v82, v133, v81
	v_sub_f16_e32 v166, v159, v161
	v_add_f16_e32 v195, v166, v82
	v_add_f16_sdwa v82, v161, v81 dst_sel:DWORD dst_unused:UNUSED_PAD src0_sel:WORD_1 src1_sel:WORD_1
	v_fma_f16 v196, v82, -0.5, v167
	v_sub_f16_sdwa v82, v159, v161 dst_sel:DWORD dst_unused:UNUSED_PAD src0_sel:WORD_1 src1_sel:WORD_1
	v_sub_f16_sdwa v166, v133, v81 dst_sel:DWORD dst_unused:UNUSED_PAD src0_sel:WORD_1 src1_sel:WORD_1
	v_add_f16_e32 v197, v82, v166
	v_add_f16_e32 v82, v161, v81
	v_fma_f16 v198, v82, -0.5, v163
	v_fma_f16 v166, v186, s1, v196
	v_fma_f16 v82, v184, s12, v198
	;; [unrolled: 1-line block ×6, first 2 shown]
	v_mul_f16_e32 v167, 0xb8b4, v166
	v_fma_f16 v199, v82, s13, v167
	v_mul_f16_e32 v82, 0x38b4, v82
	v_pk_add_f16 v74, v78, v74
	v_fma_f16 v200, v166, s13, v82
	v_add_f16_e32 v82, v76, v69
	v_pk_add_f16 v74, v74, v76
	v_fma_f16 v201, v82, -0.5, v78
	v_pk_add_f16 v69, v74, v69
	v_fma_f16 v82, v176, s12, v201
	v_pk_add_f16 v69, v69, v71
	v_fma_f16 v71, v180, s1, v193
	;; [unrolled: 2-line block ×3, first 2 shown]
	v_fma_f16 v71, v181, s0, v71
	v_pk_add_f16 v74, v74, v161
	v_fma_f16 v202, v192, s6, v82
	v_fma_f16 v71, v194, s6, v71
	v_pk_add_f16 v74, v74, v81
	v_pk_add_f16 v74, v74, v133
	v_add_f16_e32 v76, v202, v199
	v_add_f16_e32 v78, v71, v200
	v_pack_b32_f16 v82, v76, v78
	v_pk_add_f16 v81, v69, v74
	ds_read2_b32 v[166:167], v109 offset0:144 offset1:244
	ds_read2_b32 v[168:169], v107 offset0:104 offset1:204
	;; [unrolled: 1-line block ×5, first 2 shown]
	s_waitcnt lgkmcnt(0)
	s_barrier
	ds_write2_b64 v134, v[81:82], v[164:165] offset1:1
	v_sub_f16_e32 v78, v178, v188
	v_sub_f16_e32 v81, v182, v189
	v_fma_f16 v133, v186, s12, v196
	v_sub_f16_e32 v76, v202, v199
	v_sub_f16_e32 v71, v71, v200
	v_pack_b32_f16 v82, v78, v81
	v_fma_f16 v78, v184, s1, v198
	v_fma_f16 v133, v187, s7, v133
	v_pack_b32_f16 v81, v76, v71
	v_fma_f16 v71, v176, s1, v201
	v_fma_f16 v76, v180, s12, v193
	;; [unrolled: 1-line block ×7, first 2 shown]
	v_mul_f16_e32 v159, 0xb8b4, v133
	v_mul_f16_e32 v133, 0xba79, v133
	v_fma_f16 v71, v192, s6, v71
	v_fma_f16 v76, v194, s6, v76
	;; [unrolled: 1-line block ×4, first 2 shown]
	v_pk_add_f16 v164, v69, v74 neg_lo:[0,1] neg_hi:[0,1]
	v_add_f16_e32 v69, v71, v159
	v_add_f16_e32 v74, v76, v78
	v_pack_b32_f16 v163, v69, v74
	v_sub_f16_e32 v69, v179, v190
	v_sub_f16_e32 v74, v183, v191
	ds_write2_b64 v134, v[163:164], v[81:82] offset0:2 offset1:3
	v_pack_b32_f16 v81, v69, v74
	v_pk_add_f16 v69, v79, v75
	v_sub_f16_e32 v71, v71, v159
	v_sub_f16_e32 v76, v76, v78
	v_pk_add_f16 v69, v69, v77
	v_pack_b32_f16 v82, v71, v76
	v_add_f16_e32 v159, v75, v72
	v_pk_add_f16 v69, v69, v70
	ds_write_b64 v134, v[81:82] offset:32
	v_add_f16_e32 v71, v77, v70
	v_sub_f16_sdwa v74, v77, v70 dst_sel:DWORD dst_unused:UNUSED_PAD src0_sel:WORD_1 src1_sel:WORD_1
	v_sub_f16_e32 v76, v75, v77
	v_sub_f16_e32 v78, v77, v75
	v_add_f16_sdwa v81, v77, v70 dst_sel:DWORD dst_unused:UNUSED_PAD src0_sel:WORD_1 src1_sel:WORD_1
	v_sub_f16_e32 v82, v77, v70
	v_sub_f16_sdwa v133, v75, v77 dst_sel:DWORD dst_unused:UNUSED_PAD src0_sel:WORD_1 src1_sel:WORD_1
	v_sub_f16_sdwa v77, v77, v75 dst_sel:DWORD dst_unused:UNUSED_PAD src0_sel:WORD_1 src1_sel:WORD_1
	;; [unrolled: 1-line block ×3, first 2 shown]
	v_sub_f16_e32 v161, v75, v72
	v_add_f16_sdwa v75, v75, v72 dst_sel:DWORD dst_unused:UNUSED_PAD src0_sel:WORD_1 src1_sel:WORD_1
	v_sub_f16_e32 v163, v72, v70
	v_sub_f16_e32 v164, v70, v72
	v_sub_f16_sdwa v165, v72, v70 dst_sel:DWORD dst_unused:UNUSED_PAD src0_sel:WORD_1 src1_sel:WORD_1
	v_sub_f16_sdwa v70, v70, v72 dst_sel:DWORD dst_unused:UNUSED_PAD src0_sel:WORD_1 src1_sel:WORD_1
	v_pk_add_f16 v176, v69, v72
	v_fma_f16 v72, v159, -0.5, v79
	v_add_f16_e32 v69, v78, v164
	v_fma_f16 v78, v74, s1, v72
	v_fma_f16 v72, v74, s12, v72
	;; [unrolled: 1-line block ×4, first 2 shown]
	v_fma_f16 v164, v71, -0.5, v79
	v_lshrrev_b32_e32 v71, 16, v79
	v_fma_f16 v78, v69, s6, v78
	v_fma_f16 v159, v69, s6, v72
	v_add_f16_e32 v69, v77, v70
	v_fma_f16 v70, v75, -0.5, v71
	v_fma_f16 v72, v82, s12, v70
	v_fma_f16 v70, v82, s1, v70
	;; [unrolled: 1-line block ×6, first 2 shown]
	v_sub_f16_e32 v69, v172, v174
	v_sub_f16_e32 v70, v170, v168
	v_add_f16_e32 v69, v70, v69
	v_add_f16_e32 v70, v168, v174
	v_fma_f16 v70, v70, -0.5, v166
	v_sub_f16_sdwa v177, v170, v172 dst_sel:DWORD dst_unused:UNUSED_PAD src0_sel:WORD_1 src1_sel:WORD_1
	v_sub_f16_sdwa v79, v168, v174 dst_sel:DWORD dst_unused:UNUSED_PAD src0_sel:WORD_1 src1_sel:WORD_1
	v_fma_f16 v72, v177, s1, v70
	v_fma_f16 v70, v177, s12, v70
	v_fma_f16 v72, v79, s7, v72
	v_fma_f16 v70, v79, s0, v70
	v_fma_f16 v72, v69, s6, v72
	v_fma_f16 v69, v69, s6, v70
	v_sub_f16_sdwa v70, v170, v168 dst_sel:DWORD dst_unused:UNUSED_PAD src0_sel:WORD_1 src1_sel:WORD_1
	v_sub_f16_sdwa v178, v172, v174 dst_sel:DWORD dst_unused:UNUSED_PAD src0_sel:WORD_1 src1_sel:WORD_1
	v_add_f16_e32 v70, v70, v178
	v_lshrrev_b32_e32 v178, 16, v166
	v_add_f16_sdwa v179, v168, v174 dst_sel:DWORD dst_unused:UNUSED_PAD src0_sel:WORD_1 src1_sel:WORD_1
	v_fma_f16 v179, v179, -0.5, v178
	v_sub_f16_e32 v181, v170, v172
	v_sub_f16_e32 v180, v168, v174
	v_fma_f16 v182, v181, s12, v179
	v_fma_f16 v182, v180, s0, v182
	;; [unrolled: 1-line block ×6, first 2 shown]
	v_mul_f16_e32 v179, 0xbb9c, v182
	v_mul_f16_e32 v182, 0x34f2, v182
	v_fma_f16 v179, v72, s6, v179
	v_fma_f16 v182, v72, s1, v182
	v_mul_f16_e32 v72, 0xbb9c, v70
	v_mul_f16_e32 v70, 0xb4f2, v70
	v_fma_f16 v183, v69, s2, v72
	v_fma_f16 v184, v69, s1, v70
	v_add_f16_e32 v69, v159, v183
	v_add_f16_e32 v70, v77, v184
	v_pack_b32_f16 v70, v69, v70
	v_add_f16_e32 v69, v78, v179
	v_add_f16_e32 v72, v75, v182
	v_pack_b32_f16 v69, v69, v72
	v_fma_f16 v81, v81, -0.5, v71
	v_sub_f16_e32 v71, v174, v172
	v_sub_f16_e32 v72, v168, v170
	v_add_f16_e32 v76, v76, v163
	v_add_f16_e32 v163, v72, v71
	v_add_f16_sdwa v71, v170, v172 dst_sel:DWORD dst_unused:UNUSED_PAD src0_sel:WORD_1 src1_sel:WORD_1
	v_add_f16_e32 v133, v133, v165
	v_fma_f16 v165, v71, -0.5, v178
	v_sub_f16_sdwa v71, v168, v170 dst_sel:DWORD dst_unused:UNUSED_PAD src0_sel:WORD_1 src1_sel:WORD_1
	v_sub_f16_sdwa v72, v174, v172 dst_sel:DWORD dst_unused:UNUSED_PAD src0_sel:WORD_1 src1_sel:WORD_1
	v_add_f16_e32 v178, v71, v72
	v_add_f16_e32 v71, v170, v172
	v_fma_f16 v185, v71, -0.5, v166
	v_fma_f16 v72, v180, s1, v165
	v_fma_f16 v71, v79, s12, v185
	;; [unrolled: 1-line block ×6, first 2 shown]
	v_mul_f16_e32 v186, 0xb8b4, v72
	v_fma_f16 v186, v71, s13, v186
	v_mul_f16_e32 v71, 0x38b4, v71
	v_fma_f16 v187, v72, s13, v71
	v_fma_f16 v71, v134, s12, v164
	;; [unrolled: 1-line block ×7, first 2 shown]
	v_pk_add_f16 v71, v166, v168
	v_pk_add_f16 v71, v71, v170
	v_pk_add_f16 v71, v71, v172
	v_pk_add_f16 v166, v71, v174
	v_add_f16_e32 v71, v188, v186
	v_add_f16_e32 v72, v189, v187
	v_pack_b32_f16 v72, v71, v72
	v_pk_add_f16 v71, v176, v166
	ds_write2_b64 v135, v[71:72], v[69:70] offset1:1
	v_sub_f16_e32 v69, v188, v186
	v_sub_f16_e32 v71, v189, v187
	v_pack_b32_f16 v69, v69, v71
	v_fma_f16 v71, v134, s1, v164
	v_fma_f16 v71, v74, s0, v71
	v_sub_f16_e32 v70, v78, v179
	v_sub_f16_e32 v72, v75, v182
	v_fma_f16 v74, v76, s6, v71
	v_fma_f16 v71, v161, s12, v81
	v_pack_b32_f16 v70, v70, v72
	v_fma_f16 v71, v82, s7, v71
	v_fma_f16 v72, v180, s12, v165
	;; [unrolled: 1-line block ×8, first 2 shown]
	v_mul_f16_e32 v76, 0xb8b4, v72
	v_mul_f16_e32 v72, 0xba79, v72
	v_fma_f16 v76, v71, s3, v76
	v_fma_f16 v78, v71, s0, v72
	v_add_f16_e32 v71, v74, v76
	v_add_f16_e32 v79, v75, v78
	v_pk_add_f16 v72, v176, v166 neg_lo:[0,1] neg_hi:[0,1]
	v_pack_b32_f16 v71, v71, v79
	ds_write2_b64 v135, v[71:72], v[69:70] offset0:2 offset1:3
	v_sub_f16_e32 v69, v159, v183
	v_sub_f16_e32 v70, v74, v76
	;; [unrolled: 1-line block ×4, first 2 shown]
	v_pack_b32_f16 v70, v70, v72
	v_pack_b32_f16 v69, v69, v71
	ds_write_b64 v135, v[69:70] offset:32
	v_pk_add_f16 v69, v162, v158
	v_pk_add_f16 v69, v69, v160
	;; [unrolled: 1-line block ×3, first 2 shown]
	v_add_f16_e32 v70, v160, v80
	v_sub_f16_sdwa v74, v160, v80 dst_sel:DWORD dst_unused:UNUSED_PAD src0_sel:WORD_1 src1_sel:WORD_1
	v_sub_f16_e32 v71, v158, v160
	v_sub_f16_e32 v72, v160, v158
	v_add_f16_sdwa v75, v160, v80 dst_sel:DWORD dst_unused:UNUSED_PAD src0_sel:WORD_1 src1_sel:WORD_1
	v_sub_f16_e32 v76, v160, v80
	v_sub_f16_sdwa v77, v158, v160 dst_sel:DWORD dst_unused:UNUSED_PAD src0_sel:WORD_1 src1_sel:WORD_1
	v_sub_f16_sdwa v78, v160, v158 dst_sel:DWORD dst_unused:UNUSED_PAD src0_sel:WORD_1 src1_sel:WORD_1
	v_sub_f16_sdwa v79, v158, v132 dst_sel:DWORD dst_unused:UNUSED_PAD src0_sel:WORD_1 src1_sel:WORD_1
	v_add_f16_e32 v81, v158, v132
	v_sub_f16_e32 v82, v158, v132
	v_add_f16_sdwa v133, v158, v132 dst_sel:DWORD dst_unused:UNUSED_PAD src0_sel:WORD_1 src1_sel:WORD_1
	v_sub_f16_e32 v134, v132, v80
	v_sub_f16_e32 v135, v80, v132
	v_sub_f16_sdwa v158, v132, v80 dst_sel:DWORD dst_unused:UNUSED_PAD src0_sel:WORD_1 src1_sel:WORD_1
	v_sub_f16_sdwa v80, v80, v132 dst_sel:DWORD dst_unused:UNUSED_PAD src0_sel:WORD_1 src1_sel:WORD_1
	v_pk_add_f16 v132, v69, v132
	v_pk_add_f16 v69, v167, v169
	;; [unrolled: 1-line block ×4, first 2 shown]
	v_add_f16_e32 v159, v171, v173
	v_sub_f16_sdwa v160, v171, v173 dst_sel:DWORD dst_unused:UNUSED_PAD src0_sel:WORD_1 src1_sel:WORD_1
	v_sub_f16_e32 v161, v169, v171
	v_sub_f16_e32 v163, v171, v169
	v_add_f16_sdwa v164, v171, v173 dst_sel:DWORD dst_unused:UNUSED_PAD src0_sel:WORD_1 src1_sel:WORD_1
	v_sub_f16_e32 v165, v171, v173
	v_sub_f16_sdwa v166, v169, v171 dst_sel:DWORD dst_unused:UNUSED_PAD src0_sel:WORD_1 src1_sel:WORD_1
	v_sub_f16_sdwa v168, v171, v169 dst_sel:DWORD dst_unused:UNUSED_PAD src0_sel:WORD_1 src1_sel:WORD_1
	;; [unrolled: 1-line block ×3, first 2 shown]
	v_add_f16_e32 v171, v169, v175
	v_sub_f16_e32 v172, v169, v175
	v_add_f16_sdwa v169, v169, v175 dst_sel:DWORD dst_unused:UNUSED_PAD src0_sel:WORD_1 src1_sel:WORD_1
	v_sub_f16_e32 v174, v175, v173
	v_sub_f16_e32 v176, v173, v175
	v_sub_f16_sdwa v177, v175, v173 dst_sel:DWORD dst_unused:UNUSED_PAD src0_sel:WORD_1 src1_sel:WORD_1
	v_sub_f16_sdwa v173, v173, v175 dst_sel:DWORD dst_unused:UNUSED_PAD src0_sel:WORD_1 src1_sel:WORD_1
	v_pk_add_f16 v175, v69, v175
	v_add_f16_e32 v69, v72, v135
	v_fma_f16 v72, v81, -0.5, v162
	v_fma_f16 v81, v74, s1, v72
	v_fma_f16 v72, v74, s12, v72
	;; [unrolled: 1-line block ×4, first 2 shown]
	v_lshrrev_b32_e32 v72, 16, v162
	v_fma_f16 v81, v79, s7, v81
	v_fma_f16 v178, v70, -0.5, v162
	v_fma_f16 v70, v133, -0.5, v72
	v_fma_f16 v81, v69, s6, v81
	v_add_f16_e32 v69, v78, v80
	v_fma_f16 v78, v76, s12, v70
	v_fma_f16 v70, v76, s1, v70
	;; [unrolled: 1-line block ×5, first 2 shown]
	v_fma_f16 v70, v171, -0.5, v167
	v_lshrrev_b32_e32 v162, 16, v167
	v_fma_f16 v78, v69, s6, v78
	v_add_f16_e32 v69, v163, v176
	v_fma_f16 v133, v160, s1, v70
	v_fma_f16 v70, v160, s12, v70
	v_fma_f16 v163, v169, -0.5, v162
	v_fma_f16 v133, v170, s7, v133
	v_fma_f16 v70, v170, s0, v70
	v_fma_f16 v159, v159, -0.5, v167
	v_fma_f16 v167, v165, s12, v163
	v_add_f16_e32 v77, v77, v158
	v_add_f16_e32 v158, v161, v174
	v_fma_f16 v161, v164, -0.5, v162
	v_fma_f16 v133, v69, s6, v133
	v_fma_f16 v69, v69, s6, v70
	v_add_f16_e32 v70, v168, v173
	v_fma_f16 v167, v172, s0, v167
	v_fma_f16 v163, v165, s1, v163
	v_fma_f16 v75, v75, -0.5, v72
	v_fma_f16 v72, v172, s1, v161
	v_fma_f16 v167, v70, s6, v167
	;; [unrolled: 1-line block ×3, first 2 shown]
	v_add_f16_e32 v134, v71, v134
	v_add_f16_e32 v162, v166, v177
	v_fma_f16 v71, v170, s12, v159
	v_fma_f16 v72, v165, s0, v72
	;; [unrolled: 1-line block ×3, first 2 shown]
	v_mul_f16_e32 v163, 0xbb9c, v167
	v_mul_f16_e32 v167, 0x34f2, v167
	v_fma_f16 v71, v160, s7, v71
	v_fma_f16 v72, v162, s6, v72
	;; [unrolled: 1-line block ×4, first 2 shown]
	v_mul_f16_e32 v167, 0xbb9c, v70
	v_mul_f16_e32 v70, 0xb4f2, v70
	v_fma_f16 v71, v158, s6, v71
	v_mul_f16_e32 v164, 0xb8b4, v72
	v_fma_f16 v167, v69, s2, v167
	v_fma_f16 v168, v69, s1, v70
	;; [unrolled: 1-line block ×3, first 2 shown]
	v_mul_f16_e32 v71, 0x38b4, v71
	v_add_f16_e32 v69, v135, v167
	v_add_f16_e32 v70, v80, v168
	v_fma_f16 v166, v72, s13, v71
	v_fma_f16 v71, v79, s12, v178
	v_pack_b32_f16 v70, v69, v70
	v_add_f16_e32 v69, v81, v163
	v_add_f16_e32 v169, v78, v133
	v_fma_f16 v71, v74, s7, v71
	v_pack_b32_f16 v69, v69, v169
	v_fma_f16 v169, v134, s6, v71
	v_fma_f16 v71, v82, s1, v75
	;; [unrolled: 1-line block ×4, first 2 shown]
	v_add_f16_e32 v71, v169, v164
	v_add_f16_e32 v72, v171, v166
	v_pack_b32_f16 v72, v71, v72
	v_pk_add_f16 v71, v132, v175
	ds_write2_b64 v136, v[71:72], v[69:70] offset1:1
	v_sub_f16_e32 v69, v169, v164
	v_sub_f16_e32 v71, v171, v166
	v_pack_b32_f16 v69, v69, v71
	v_fma_f16 v71, v79, s1, v178
	v_fma_f16 v71, v74, s0, v71
	v_sub_f16_e32 v70, v81, v163
	v_sub_f16_e32 v72, v78, v133
	v_fma_f16 v74, v134, s6, v71
	v_fma_f16 v71, v82, s12, v75
	v_pack_b32_f16 v70, v70, v72
	v_fma_f16 v71, v76, s7, v71
	v_fma_f16 v72, v172, s12, v161
	;; [unrolled: 1-line block ×8, first 2 shown]
	v_mul_f16_e32 v76, 0xb8b4, v72
	v_mul_f16_e32 v72, 0xba79, v72
	v_fma_f16 v76, v71, s3, v76
	v_fma_f16 v77, v71, s0, v72
	v_add_f16_e32 v71, v74, v76
	v_add_f16_e32 v78, v75, v77
	v_pk_add_f16 v72, v132, v175 neg_lo:[0,1] neg_hi:[0,1]
	v_pack_b32_f16 v71, v71, v78
	ds_write2_b64 v136, v[71:72], v[69:70] offset0:2 offset1:3
	v_sub_f16_e32 v69, v135, v167
	v_sub_f16_e32 v70, v74, v76
	v_sub_f16_e32 v71, v80, v168
	v_sub_f16_e32 v72, v75, v77
	v_pack_b32_f16 v70, v70, v72
	v_pack_b32_f16 v69, v69, v71
	ds_write_b64 v136, v[69:70] offset:32
	s_waitcnt lgkmcnt(0)
	s_barrier
	ds_read2_b32 v[69:70], v107 offset0:104 offset1:204
	ds_read2_b32 v[71:72], v122 offset0:80 offset1:180
	s_waitcnt lgkmcnt(1)
	v_lshrrev_b32_e32 v74, 16, v69
	v_mul_f16_sdwa v75, v49, v69 dst_sel:DWORD dst_unused:UNUSED_PAD src0_sel:WORD_1 src1_sel:DWORD
	v_fma_f16 v75, v49, v74, -v75
	v_mul_f16_sdwa v74, v49, v74 dst_sel:DWORD dst_unused:UNUSED_PAD src0_sel:WORD_1 src1_sel:DWORD
	v_fma_f16 v69, v49, v69, v74
	s_waitcnt lgkmcnt(0)
	v_lshrrev_b32_e32 v49, 16, v71
	v_mul_f16_sdwa v74, v50, v71 dst_sel:DWORD dst_unused:UNUSED_PAD src0_sel:WORD_1 src1_sel:DWORD
	v_fma_f16 v74, v50, v49, -v74
	v_mul_f16_sdwa v49, v50, v49 dst_sel:DWORD dst_unused:UNUSED_PAD src0_sel:WORD_1 src1_sel:DWORD
	v_fma_f16 v71, v50, v71, v49
	v_lshrrev_b32_e32 v49, 16, v70
	v_mul_f16_sdwa v50, v55, v49 dst_sel:DWORD dst_unused:UNUSED_PAD src0_sel:WORD_1 src1_sel:DWORD
	v_fma_f16 v76, v55, v70, v50
	v_mul_f16_sdwa v50, v55, v70 dst_sel:DWORD dst_unused:UNUSED_PAD src0_sel:WORD_1 src1_sel:DWORD
	v_fma_f16 v70, v55, v49, -v50
	v_lshrrev_b32_e32 v55, 16, v72
	ds_read2_b32 v[49:50], v126 offset0:48 offset1:148
	v_mul_f16_sdwa v77, v56, v55 dst_sel:DWORD dst_unused:UNUSED_PAD src0_sel:WORD_1 src1_sel:DWORD
	v_fma_f16 v77, v56, v72, v77
	v_mul_f16_sdwa v72, v56, v72 dst_sel:DWORD dst_unused:UNUSED_PAD src0_sel:WORD_1 src1_sel:DWORD
	v_fma_f16 v72, v56, v55, -v72
	ds_read2_b32 v[55:56], v103 offset0:152 offset1:252
	s_waitcnt lgkmcnt(1)
	v_lshrrev_b32_e32 v78, 16, v49
	v_mul_f16_sdwa v79, v53, v49 dst_sel:DWORD dst_unused:UNUSED_PAD src0_sel:WORD_1 src1_sel:DWORD
	v_fma_f16 v79, v53, v78, -v79
	v_mul_f16_sdwa v78, v53, v78 dst_sel:DWORD dst_unused:UNUSED_PAD src0_sel:WORD_1 src1_sel:DWORD
	v_fma_f16 v78, v53, v49, v78
	s_waitcnt lgkmcnt(0)
	v_lshrrev_b32_e32 v49, 16, v55
	v_mul_f16_sdwa v53, v54, v55 dst_sel:DWORD dst_unused:UNUSED_PAD src0_sel:WORD_1 src1_sel:DWORD
	v_fma_f16 v80, v54, v49, -v53
	v_mul_f16_sdwa v49, v54, v49 dst_sel:DWORD dst_unused:UNUSED_PAD src0_sel:WORD_1 src1_sel:DWORD
	v_fma_f16 v81, v54, v55, v49
	v_lshrrev_b32_e32 v49, 16, v50
	v_mul_f16_sdwa v53, v51, v49 dst_sel:DWORD dst_unused:UNUSED_PAD src0_sel:WORD_1 src1_sel:DWORD
	v_fma_f16 v82, v51, v50, v53
	v_mul_f16_sdwa v50, v51, v50 dst_sel:DWORD dst_unused:UNUSED_PAD src0_sel:WORD_1 src1_sel:DWORD
	v_fma_f16 v132, v51, v49, -v50
	v_lshrrev_b32_e32 v51, 16, v56
	ds_read2_b32 v[49:50], v125 offset0:120 offset1:220
	v_mul_f16_sdwa v53, v52, v51 dst_sel:DWORD dst_unused:UNUSED_PAD src0_sel:WORD_1 src1_sel:DWORD
	v_fma_f16 v133, v52, v56, v53
	v_mul_f16_sdwa v53, v52, v56 dst_sel:DWORD dst_unused:UNUSED_PAD src0_sel:WORD_1 src1_sel:DWORD
	v_fma_f16 v134, v52, v51, -v53
	ds_read2_b32 v[51:52], v120 offset0:96 offset1:196
	s_waitcnt lgkmcnt(1)
	v_lshrrev_b32_e32 v53, 16, v49
	v_mul_f16_sdwa v54, v67, v49 dst_sel:DWORD dst_unused:UNUSED_PAD src0_sel:WORD_1 src1_sel:DWORD
	v_fma_f16 v135, v67, v53, -v54
	v_mul_f16_sdwa v53, v67, v53 dst_sel:DWORD dst_unused:UNUSED_PAD src0_sel:WORD_1 src1_sel:DWORD
	v_fma_f16 v67, v67, v49, v53
	s_waitcnt lgkmcnt(0)
	v_lshrrev_b32_e32 v49, 16, v51
	v_mul_f16_sdwa v53, v68, v51 dst_sel:DWORD dst_unused:UNUSED_PAD src0_sel:WORD_1 src1_sel:DWORD
	v_fma_f16 v136, v68, v49, -v53
	v_mul_f16_sdwa v49, v68, v49 dst_sel:DWORD dst_unused:UNUSED_PAD src0_sel:WORD_1 src1_sel:DWORD
	v_fma_f16 v68, v68, v51, v49
	v_lshrrev_b32_e32 v49, 16, v50
	v_mul_f16_sdwa v51, v65, v49 dst_sel:DWORD dst_unused:UNUSED_PAD src0_sel:WORD_1 src1_sel:DWORD
	v_fma_f16 v158, v65, v50, v51
	v_mul_f16_sdwa v50, v65, v50 dst_sel:DWORD dst_unused:UNUSED_PAD src0_sel:WORD_1 src1_sel:DWORD
	v_lshrrev_b32_e32 v51, 16, v52
	v_fma_f16 v65, v65, v49, -v50
	ds_read2_b32 v[49:50], v106 offset0:64 offset1:164
	v_mul_f16_sdwa v53, v66, v51 dst_sel:DWORD dst_unused:UNUSED_PAD src0_sel:WORD_1 src1_sel:DWORD
	v_fma_f16 v159, v66, v52, v53
	v_mul_f16_sdwa v52, v66, v52 dst_sel:DWORD dst_unused:UNUSED_PAD src0_sel:WORD_1 src1_sel:DWORD
	v_fma_f16 v66, v66, v51, -v52
	ds_read2_b32 v[51:52], v117 offset0:40 offset1:140
	s_waitcnt lgkmcnt(1)
	v_lshrrev_b32_e32 v53, 16, v49
	v_mul_f16_sdwa v54, v63, v49 dst_sel:DWORD dst_unused:UNUSED_PAD src0_sel:WORD_1 src1_sel:DWORD
	v_fma_f16 v160, v63, v53, -v54
	v_mul_f16_sdwa v53, v63, v53 dst_sel:DWORD dst_unused:UNUSED_PAD src0_sel:WORD_1 src1_sel:DWORD
	v_fma_f16 v63, v63, v49, v53
	s_waitcnt lgkmcnt(0)
	v_lshrrev_b32_e32 v49, 16, v51
	v_mul_f16_sdwa v53, v64, v51 dst_sel:DWORD dst_unused:UNUSED_PAD src0_sel:WORD_1 src1_sel:DWORD
	v_fma_f16 v161, v64, v49, -v53
	v_mul_f16_sdwa v49, v64, v49 dst_sel:DWORD dst_unused:UNUSED_PAD src0_sel:WORD_1 src1_sel:DWORD
	v_fma_f16 v64, v64, v51, v49
	v_lshrrev_b32_e32 v49, 16, v50
	v_mul_f16_sdwa v51, v61, v49 dst_sel:DWORD dst_unused:UNUSED_PAD src0_sel:WORD_1 src1_sel:DWORD
	v_fma_f16 v162, v61, v50, v51
	v_mul_f16_sdwa v50, v61, v50 dst_sel:DWORD dst_unused:UNUSED_PAD src0_sel:WORD_1 src1_sel:DWORD
	v_lshrrev_b32_e32 v51, 16, v52
	v_fma_f16 v61, v61, v49, -v50
	ds_read2_b32 v[49:50], v124 offset0:8 offset1:108
	v_mul_f16_sdwa v53, v62, v51 dst_sel:DWORD dst_unused:UNUSED_PAD src0_sel:WORD_1 src1_sel:DWORD
	v_fma_f16 v163, v62, v52, v53
	v_mul_f16_sdwa v52, v62, v52 dst_sel:DWORD dst_unused:UNUSED_PAD src0_sel:WORD_1 src1_sel:DWORD
	v_fma_f16 v62, v62, v51, -v52
	ds_read2_b32 v[51:52], v97 offset0:112 offset1:212
	s_waitcnt lgkmcnt(1)
	v_lshrrev_b32_e32 v53, 16, v49
	v_mul_f16_sdwa v54, v59, v49 dst_sel:DWORD dst_unused:UNUSED_PAD src0_sel:WORD_1 src1_sel:DWORD
	v_fma_f16 v164, v59, v53, -v54
	v_mul_f16_sdwa v53, v59, v53 dst_sel:DWORD dst_unused:UNUSED_PAD src0_sel:WORD_1 src1_sel:DWORD
	v_fma_f16 v59, v59, v49, v53
	s_waitcnt lgkmcnt(0)
	v_lshrrev_b32_e32 v49, 16, v51
	v_mul_f16_sdwa v53, v60, v51 dst_sel:DWORD dst_unused:UNUSED_PAD src0_sel:WORD_1 src1_sel:DWORD
	v_fma_f16 v165, v60, v49, -v53
	v_mul_f16_sdwa v49, v60, v49 dst_sel:DWORD dst_unused:UNUSED_PAD src0_sel:WORD_1 src1_sel:DWORD
	v_fma_f16 v60, v60, v51, v49
	v_lshrrev_b32_e32 v49, 16, v50
	v_mul_f16_sdwa v51, v57, v49 dst_sel:DWORD dst_unused:UNUSED_PAD src0_sel:WORD_1 src1_sel:DWORD
	v_fma_f16 v166, v57, v50, v51
	v_mul_f16_sdwa v50, v57, v50 dst_sel:DWORD dst_unused:UNUSED_PAD src0_sel:WORD_1 src1_sel:DWORD
	v_fma_f16 v167, v57, v49, -v50
	ds_read2_b32 v[49:50], v123 offset1:100
	v_lshrrev_b32_e32 v51, 16, v52
	v_mul_f16_sdwa v53, v58, v51 dst_sel:DWORD dst_unused:UNUSED_PAD src0_sel:WORD_1 src1_sel:DWORD
	v_fma_f16 v168, v58, v52, v53
	v_mul_f16_sdwa v52, v58, v52 dst_sel:DWORD dst_unused:UNUSED_PAD src0_sel:WORD_1 src1_sel:DWORD
	v_fma_f16 v169, v58, v51, -v52
	s_waitcnt lgkmcnt(0)
	v_lshrrev_b32_e32 v51, 16, v49
	v_add_f16_e32 v52, v51, v75
	v_add_f16_e32 v53, v75, v74
	;; [unrolled: 1-line block ×3, first 2 shown]
	v_sub_f16_e32 v170, v75, v74
	v_fma_f16 v74, v53, -0.5, v51
	v_add_f16_e32 v51, v49, v69
	v_add_f16_e32 v53, v69, v71
	;; [unrolled: 1-line block ×3, first 2 shown]
	v_sub_f16_e32 v69, v69, v71
	v_fma_f16 v49, v53, -0.5, v49
	v_pack_b32_f16 v71, v51, v52
	v_fma_f16 v51, v170, s15, v49
	v_fma_f16 v52, v69, s14, v74
	;; [unrolled: 1-line block ×4, first 2 shown]
	v_pack_b32_f16 v49, v49, v69
	v_pack_b32_f16 v75, v51, v52
	ds_read2_b32 v[51:52], v131 offset0:72 offset1:172
	ds_read2_b32 v[53:54], v109 offset0:144 offset1:244
	;; [unrolled: 1-line block ×4, first 2 shown]
	s_waitcnt lgkmcnt(0)
	s_barrier
	ds_write_b32 v138, v49 offset:80
	v_add_f16_e32 v49, v76, v77
	v_lshrrev_b32_e32 v69, 16, v50
	ds_write2_b32 v138, v71, v75 offset1:10
	v_fma_f16 v49, v49, -0.5, v50
	v_add_f16_e32 v50, v50, v76
	v_add_f16_e32 v71, v69, v70
	v_sub_f16_e32 v74, v70, v72
	v_add_f16_e32 v70, v70, v72
	v_add_f16_e32 v71, v71, v72
	v_fma_f16 v69, v70, -0.5, v69
	v_add_f16_e32 v50, v50, v77
	v_sub_f16_e32 v70, v76, v77
	v_pack_b32_f16 v50, v50, v71
	v_fma_f16 v71, v74, s15, v49
	v_fma_f16 v72, v70, s14, v69
	v_pack_b32_f16 v71, v71, v72
	ds_write2_b32 v140, v50, v71 offset1:10
	v_fma_f16 v49, v74, s14, v49
	v_fma_f16 v50, v70, s15, v69
	v_pack_b32_f16 v49, v49, v50
	ds_write_b32 v140, v49 offset:80
	v_lshrrev_b32_e32 v49, 16, v51
	v_add_f16_e32 v70, v79, v80
	v_add_f16_e32 v50, v49, v79
	v_fma_f16 v49, v70, -0.5, v49
	v_add_f16_e32 v70, v51, v78
	v_add_f16_e32 v71, v78, v81
	v_add_f16_e32 v50, v50, v80
	v_sub_f16_e32 v69, v79, v80
	v_add_f16_e32 v70, v70, v81
	v_sub_f16_e32 v72, v78, v81
	v_fma_f16 v51, v71, -0.5, v51
	v_pack_b32_f16 v50, v70, v50
	v_fma_f16 v70, v69, s15, v51
	v_fma_f16 v71, v72, s14, v49
	v_pack_b32_f16 v70, v70, v71
	ds_write2_b32 v141, v50, v70 offset1:10
	v_fma_f16 v50, v69, s14, v51
	v_fma_f16 v49, v72, s15, v49
	v_pack_b32_f16 v49, v50, v49
	ds_write_b32 v141, v49 offset:80
	v_add_f16_e32 v49, v82, v133
	v_lshrrev_b32_e32 v50, 16, v52
	v_fma_f16 v49, v49, -0.5, v52
	v_add_f16_e32 v51, v52, v82
	v_add_f16_e32 v52, v50, v132
	;; [unrolled: 1-line block ×4, first 2 shown]
	v_sub_f16_e32 v69, v132, v134
	v_fma_f16 v50, v70, -0.5, v50
	v_add_f16_e32 v51, v51, v133
	v_sub_f16_e32 v70, v82, v133
	v_pack_b32_f16 v51, v51, v52
	v_fma_f16 v52, v69, s15, v49
	v_fma_f16 v71, v70, s14, v50
	;; [unrolled: 1-line block ×4, first 2 shown]
	v_pack_b32_f16 v52, v52, v71
	v_pack_b32_f16 v49, v49, v50
	ds_write2_b32 v142, v51, v52 offset1:10
	ds_write_b32 v142, v49 offset:80
	v_lshrrev_b32_e32 v49, 16, v53
	v_add_f16_e32 v52, v135, v136
	v_add_f16_e32 v50, v49, v135
	v_fma_f16 v49, v52, -0.5, v49
	v_add_f16_e32 v52, v53, v67
	v_add_f16_e32 v50, v50, v136
	;; [unrolled: 1-line block ×4, first 2 shown]
	v_sub_f16_e32 v51, v135, v136
	v_sub_f16_e32 v67, v67, v68
	v_pack_b32_f16 v50, v52, v50
	v_fma_f16 v52, v69, -0.5, v53
	v_fma_f16 v53, v51, s15, v52
	v_fma_f16 v68, v67, s14, v49
	v_pack_b32_f16 v53, v53, v68
	ds_write2_b32 v143, v50, v53 offset1:10
	v_fma_f16 v50, v51, s14, v52
	v_fma_f16 v49, v67, s15, v49
	v_pack_b32_f16 v49, v50, v49
	ds_write_b32 v143, v49 offset:80
	v_add_f16_e32 v49, v158, v159
	v_lshrrev_b32_e32 v50, 16, v54
	v_fma_f16 v49, v49, -0.5, v54
	v_add_f16_e32 v51, v54, v158
	v_add_f16_e32 v52, v50, v65
	;; [unrolled: 1-line block ×4, first 2 shown]
	v_sub_f16_e32 v53, v65, v66
	v_fma_f16 v50, v54, -0.5, v50
	v_add_f16_e32 v51, v51, v159
	v_sub_f16_e32 v54, v158, v159
	v_pack_b32_f16 v51, v51, v52
	v_fma_f16 v52, v53, s15, v49
	v_fma_f16 v65, v54, s14, v50
	;; [unrolled: 1-line block ×4, first 2 shown]
	v_pack_b32_f16 v52, v52, v65
	v_pack_b32_f16 v49, v49, v50
	ds_write2_b32 v144, v51, v52 offset1:10
	ds_write_b32 v144, v49 offset:80
	v_lshrrev_b32_e32 v49, 16, v55
	v_add_f16_e32 v52, v160, v161
	v_add_f16_e32 v50, v49, v160
	v_fma_f16 v49, v52, -0.5, v49
	v_add_f16_e32 v52, v55, v63
	v_add_f16_e32 v50, v50, v161
	;; [unrolled: 1-line block ×4, first 2 shown]
	v_sub_f16_e32 v51, v160, v161
	v_sub_f16_e32 v54, v63, v64
	v_pack_b32_f16 v50, v52, v50
	v_fma_f16 v52, v53, -0.5, v55
	v_fma_f16 v53, v51, s15, v52
	v_fma_f16 v55, v54, s14, v49
	v_pack_b32_f16 v53, v53, v55
	ds_write2_b32 v145, v50, v53 offset1:10
	v_fma_f16 v50, v51, s14, v52
	v_fma_f16 v49, v54, s15, v49
	v_pack_b32_f16 v49, v50, v49
	v_lshrrev_b32_e32 v50, 16, v56
	ds_write_b32 v145, v49 offset:80
	v_add_f16_e32 v49, v162, v163
	v_add_f16_e32 v51, v56, v162
	;; [unrolled: 1-line block ×4, first 2 shown]
	v_fma_f16 v49, v49, -0.5, v56
	v_add_f16_e32 v52, v52, v62
	v_sub_f16_e32 v53, v61, v62
	v_fma_f16 v50, v54, -0.5, v50
	v_add_f16_e32 v51, v51, v163
	v_sub_f16_e32 v54, v162, v163
	v_pack_b32_f16 v51, v51, v52
	v_fma_f16 v52, v53, s15, v49
	v_fma_f16 v55, v54, s14, v50
	v_fma_f16 v49, v53, s14, v49
	v_fma_f16 v50, v54, s15, v50
	v_pack_b32_f16 v52, v52, v55
	v_pack_b32_f16 v49, v49, v50
	ds_write2_b32 v147, v51, v52 offset1:10
	ds_write_b32 v147, v49 offset:80
	v_lshrrev_b32_e32 v49, 16, v57
	v_add_f16_e32 v52, v164, v165
	v_add_f16_e32 v50, v49, v164
	v_fma_f16 v49, v52, -0.5, v49
	v_add_f16_e32 v52, v57, v59
	v_add_f16_e32 v50, v50, v165
	;; [unrolled: 1-line block ×4, first 2 shown]
	v_sub_f16_e32 v51, v164, v165
	v_sub_f16_e32 v54, v59, v60
	v_pack_b32_f16 v50, v52, v50
	v_fma_f16 v52, v53, -0.5, v57
	v_fma_f16 v53, v51, s15, v52
	v_fma_f16 v55, v54, s14, v49
	v_pack_b32_f16 v53, v53, v55
	ds_write2_b32 v148, v50, v53 offset1:10
	v_fma_f16 v50, v51, s14, v52
	v_fma_f16 v49, v54, s15, v49
	v_pack_b32_f16 v49, v50, v49
	v_lshrrev_b32_e32 v50, 16, v58
	ds_write_b32 v148, v49 offset:80
	v_add_f16_e32 v49, v166, v168
	v_add_f16_e32 v51, v58, v166
	;; [unrolled: 1-line block ×4, first 2 shown]
	v_fma_f16 v49, v49, -0.5, v58
	v_add_f16_e32 v52, v52, v169
	v_sub_f16_e32 v53, v167, v169
	v_fma_f16 v50, v54, -0.5, v50
	v_add_f16_e32 v51, v51, v168
	v_sub_f16_e32 v54, v166, v168
	v_pack_b32_f16 v51, v51, v52
	v_fma_f16 v52, v53, s15, v49
	v_fma_f16 v55, v54, s14, v50
	;; [unrolled: 1-line block ×4, first 2 shown]
	v_pack_b32_f16 v52, v52, v55
	v_pack_b32_f16 v49, v49, v50
	ds_write2_b32 v150, v51, v52 offset1:10
	ds_write_b32 v150, v49 offset:80
	s_waitcnt lgkmcnt(0)
	s_barrier
	ds_read2_b32 v[49:50], v131 offset0:72 offset1:172
	ds_read2_b32 v[51:52], v128 offset0:88 offset1:188
	;; [unrolled: 1-line block ×5, first 2 shown]
	s_waitcnt lgkmcnt(4)
	v_lshrrev_b32_e32 v53, 16, v50
	v_mul_f16_sdwa v54, v4, v50 dst_sel:DWORD dst_unused:UNUSED_PAD src0_sel:WORD_1 src1_sel:DWORD
	v_fma_f16 v58, v4, v53, -v54
	v_mul_f16_sdwa v53, v4, v53 dst_sel:DWORD dst_unused:UNUSED_PAD src0_sel:WORD_1 src1_sel:DWORD
	v_fma_f16 v59, v4, v50, v53
	s_waitcnt lgkmcnt(3)
	v_lshrrev_b32_e32 v4, 16, v51
	v_mul_f16_sdwa v50, v5, v51 dst_sel:DWORD dst_unused:UNUSED_PAD src0_sel:WORD_1 src1_sel:DWORD
	v_fma_f16 v61, v5, v4, -v50
	v_mul_f16_sdwa v4, v5, v4 dst_sel:DWORD dst_unused:UNUSED_PAD src0_sel:WORD_1 src1_sel:DWORD
	v_fma_f16 v63, v5, v51, v4
	ds_read2_b32 v[4:5], v126 offset0:48 offset1:148
	s_waitcnt lgkmcnt(3)
	v_lshrrev_b32_e32 v50, 16, v65
	v_mul_f16_sdwa v51, v6, v65 dst_sel:DWORD dst_unused:UNUSED_PAD src0_sel:WORD_1 src1_sel:DWORD
	v_fma_f16 v60, v6, v50, -v51
	v_mul_f16_sdwa v50, v6, v50 dst_sel:DWORD dst_unused:UNUSED_PAD src0_sel:WORD_1 src1_sel:DWORD
	v_fma_f16 v62, v6, v65, v50
	s_waitcnt lgkmcnt(0)
	v_lshrrev_b32_e32 v6, 16, v4
	v_mul_f16_sdwa v50, v7, v4 dst_sel:DWORD dst_unused:UNUSED_PAD src0_sel:WORD_1 src1_sel:DWORD
	v_fma_f16 v65, v7, v6, -v50
	v_mul_f16_sdwa v6, v7, v6 dst_sel:DWORD dst_unused:UNUSED_PAD src0_sel:WORD_1 src1_sel:DWORD
	v_fma_f16 v66, v7, v4, v6
	v_lshrrev_b32_e32 v4, 16, v52
	v_mul_f16_sdwa v6, v33, v4 dst_sel:DWORD dst_unused:UNUSED_PAD src0_sel:WORD_1 src1_sel:DWORD
	v_fma_f16 v53, v33, v52, v6
	v_mul_f16_sdwa v6, v33, v52 dst_sel:DWORD dst_unused:UNUSED_PAD src0_sel:WORD_1 src1_sel:DWORD
	v_fma_f16 v50, v33, v4, -v6
	ds_read2_b32 v[6:7], v109 offset0:144 offset1:244
	v_lshrrev_b32_e32 v4, 16, v5
	v_mul_f16_sdwa v33, v35, v4 dst_sel:DWORD dst_unused:UNUSED_PAD src0_sel:WORD_1 src1_sel:DWORD
	v_fma_f16 v57, v35, v5, v33
	v_mul_f16_sdwa v5, v35, v5 dst_sel:DWORD dst_unused:UNUSED_PAD src0_sel:WORD_1 src1_sel:DWORD
	v_fma_f16 v55, v35, v4, -v5
	s_waitcnt lgkmcnt(0)
	v_lshrrev_b32_e32 v4, 16, v6
	v_mul_f16_sdwa v5, v32, v6 dst_sel:DWORD dst_unused:UNUSED_PAD src0_sel:WORD_1 src1_sel:DWORD
	v_fma_f16 v51, v32, v4, -v5
	v_mul_f16_sdwa v4, v32, v4 dst_sel:DWORD dst_unused:UNUSED_PAD src0_sel:WORD_1 src1_sel:DWORD
	v_fma_f16 v54, v32, v6, v4
	v_lshrrev_b32_e32 v4, 16, v67
	v_mul_f16_sdwa v5, v34, v67 dst_sel:DWORD dst_unused:UNUSED_PAD src0_sel:WORD_1 src1_sel:DWORD
	v_fma_f16 v52, v34, v4, -v5
	v_mul_f16_sdwa v4, v34, v4 dst_sel:DWORD dst_unused:UNUSED_PAD src0_sel:WORD_1 src1_sel:DWORD
	v_fma_f16 v56, v34, v67, v4
	v_lshrrev_b32_e32 v4, 16, v7
	v_mul_f16_sdwa v5, v36, v4 dst_sel:DWORD dst_unused:UNUSED_PAD src0_sel:WORD_1 src1_sel:DWORD
	v_mul_f16_sdwa v6, v36, v7 dst_sel:DWORD dst_unused:UNUSED_PAD src0_sel:WORD_1 src1_sel:DWORD
	v_fma_f16 v5, v36, v7, v5
	v_fma_f16 v4, v36, v4, -v6
	ds_read2_b32 v[35:36], v125 offset0:120 offset1:220
	v_lshrrev_b32_e32 v6, 16, v64
	v_mul_f16_sdwa v7, v37, v6 dst_sel:DWORD dst_unused:UNUSED_PAD src0_sel:WORD_1 src1_sel:DWORD
	v_fma_f16 v33, v37, v64, v7
	v_mul_f16_sdwa v7, v37, v64 dst_sel:DWORD dst_unused:UNUSED_PAD src0_sel:WORD_1 src1_sel:DWORD
	v_fma_f16 v32, v37, v6, -v7
	v_lshrrev_b32_e32 v6, 16, v68
	v_mul_f16_sdwa v34, v38, v68 dst_sel:DWORD dst_unused:UNUSED_PAD src0_sel:WORD_1 src1_sel:DWORD
	v_mul_f16_sdwa v7, v38, v6 dst_sel:DWORD dst_unused:UNUSED_PAD src0_sel:WORD_1 src1_sel:DWORD
	v_fma_f16 v6, v38, v6, -v34
	s_waitcnt lgkmcnt(0)
	v_lshrrev_b32_e32 v37, 16, v35
	v_mul_f16_sdwa v34, v39, v35 dst_sel:DWORD dst_unused:UNUSED_PAD src0_sel:WORD_1 src1_sel:DWORD
	v_fma_f16 v34, v39, v37, -v34
	v_mul_f16_sdwa v37, v39, v37 dst_sel:DWORD dst_unused:UNUSED_PAD src0_sel:WORD_1 src1_sel:DWORD
	v_fma_f16 v7, v38, v68, v7
	v_fma_f16 v35, v39, v35, v37
	ds_read2_b32 v[37:38], v124 offset0:8 offset1:108
	v_lshrrev_b32_e32 v39, 16, v36
	v_mul_f16_sdwa v64, v0, v39 dst_sel:DWORD dst_unused:UNUSED_PAD src0_sel:WORD_1 src1_sel:DWORD
	v_fma_f16 v68, v0, v36, v64
	v_mul_f16_sdwa v36, v0, v36 dst_sel:DWORD dst_unused:UNUSED_PAD src0_sel:WORD_1 src1_sel:DWORD
	v_fma_f16 v67, v0, v39, -v36
	s_waitcnt lgkmcnt(0)
	v_lshrrev_b32_e32 v0, 16, v37
	v_mul_f16_sdwa v36, v1, v37 dst_sel:DWORD dst_unused:UNUSED_PAD src0_sel:WORD_1 src1_sel:DWORD
	v_fma_f16 v70, v1, v0, -v36
	v_mul_f16_sdwa v0, v1, v0 dst_sel:DWORD dst_unused:UNUSED_PAD src0_sel:WORD_1 src1_sel:DWORD
	v_fma_f16 v72, v1, v37, v0
	ds_read2_b32 v[0:1], v120 offset0:96 offset1:196
	v_lshrrev_b32_e32 v36, 16, v77
	v_mul_f16_sdwa v37, v2, v77 dst_sel:DWORD dst_unused:UNUSED_PAD src0_sel:WORD_1 src1_sel:DWORD
	v_fma_f16 v69, v2, v36, -v37
	v_mul_f16_sdwa v36, v2, v36 dst_sel:DWORD dst_unused:UNUSED_PAD src0_sel:WORD_1 src1_sel:DWORD
	v_fma_f16 v71, v2, v77, v36
	s_waitcnt lgkmcnt(0)
	v_lshrrev_b32_e32 v2, 16, v0
	v_mul_f16_sdwa v36, v3, v0 dst_sel:DWORD dst_unused:UNUSED_PAD src0_sel:WORD_1 src1_sel:DWORD
	v_fma_f16 v74, v3, v2, -v36
	v_mul_f16_sdwa v2, v3, v2 dst_sel:DWORD dst_unused:UNUSED_PAD src0_sel:WORD_1 src1_sel:DWORD
	v_fma_f16 v75, v3, v0, v2
	v_lshrrev_b32_e32 v0, 16, v38
	v_mul_f16_sdwa v2, v29, v0 dst_sel:DWORD dst_unused:UNUSED_PAD src0_sel:WORD_1 src1_sel:DWORD
	v_fma_f16 v37, v29, v38, v2
	v_mul_f16_sdwa v2, v29, v38 dst_sel:DWORD dst_unused:UNUSED_PAD src0_sel:WORD_1 src1_sel:DWORD
	v_fma_f16 v36, v29, v0, -v2
	ds_read2_b32 v[2:3], v106 offset0:64 offset1:164
	v_lshrrev_b32_e32 v0, 16, v1
	ds_read2_b32 v[77:78], v103 offset0:152 offset1:252
	v_mul_f16_sdwa v29, v31, v0 dst_sel:DWORD dst_unused:UNUSED_PAD src0_sel:WORD_1 src1_sel:DWORD
	v_fma_f16 v64, v31, v1, v29
	v_mul_f16_sdwa v1, v31, v1 dst_sel:DWORD dst_unused:UNUSED_PAD src0_sel:WORD_1 src1_sel:DWORD
	v_fma_f16 v39, v31, v0, -v1
	s_waitcnt lgkmcnt(1)
	v_lshrrev_b32_e32 v0, 16, v2
	v_mul_f16_sdwa v1, v28, v2 dst_sel:DWORD dst_unused:UNUSED_PAD src0_sel:WORD_1 src1_sel:DWORD
	v_fma_f16 v29, v28, v0, -v1
	v_mul_f16_sdwa v0, v28, v0 dst_sel:DWORD dst_unused:UNUSED_PAD src0_sel:WORD_1 src1_sel:DWORD
	v_fma_f16 v38, v28, v2, v0
	s_waitcnt lgkmcnt(0)
	v_lshrrev_b32_e32 v0, 16, v77
	v_mul_f16_sdwa v1, v30, v77 dst_sel:DWORD dst_unused:UNUSED_PAD src0_sel:WORD_1 src1_sel:DWORD
	v_fma_f16 v31, v30, v0, -v1
	v_mul_f16_sdwa v0, v30, v0 dst_sel:DWORD dst_unused:UNUSED_PAD src0_sel:WORD_1 src1_sel:DWORD
	v_fma_f16 v30, v30, v77, v0
	v_lshrrev_b32_e32 v0, 16, v3
	v_mul_f16_sdwa v2, v24, v3 dst_sel:DWORD dst_unused:UNUSED_PAD src0_sel:WORD_1 src1_sel:DWORD
	v_mul_f16_sdwa v1, v24, v0 dst_sel:DWORD dst_unused:UNUSED_PAD src0_sel:WORD_1 src1_sel:DWORD
	v_fma_f16 v0, v24, v0, -v2
	v_lshrrev_b32_e32 v2, 16, v76
	ds_read2_b32 v[79:80], v117 offset0:40 offset1:140
	v_fma_f16 v1, v24, v3, v1
	v_mul_f16_sdwa v3, v25, v2 dst_sel:DWORD dst_unused:UNUSED_PAD src0_sel:WORD_1 src1_sel:DWORD
	v_fma_f16 v28, v25, v76, v3
	v_mul_f16_sdwa v3, v25, v76 dst_sel:DWORD dst_unused:UNUSED_PAD src0_sel:WORD_1 src1_sel:DWORD
	v_fma_f16 v24, v25, v2, -v3
	v_lshrrev_b32_e32 v2, 16, v78
	v_mul_f16_sdwa v3, v26, v2 dst_sel:DWORD dst_unused:UNUSED_PAD src0_sel:WORD_1 src1_sel:DWORD
	v_mul_f16_sdwa v25, v26, v78 dst_sel:DWORD dst_unused:UNUSED_PAD src0_sel:WORD_1 src1_sel:DWORD
	v_fma_f16 v3, v26, v78, v3
	v_fma_f16 v2, v26, v2, -v25
	s_waitcnt lgkmcnt(0)
	v_lshrrev_b32_e32 v26, 16, v79
	v_mul_f16_sdwa v25, v27, v79 dst_sel:DWORD dst_unused:UNUSED_PAD src0_sel:WORD_1 src1_sel:DWORD
	v_fma_f16 v25, v27, v26, -v25
	v_mul_f16_sdwa v26, v27, v26 dst_sel:DWORD dst_unused:UNUSED_PAD src0_sel:WORD_1 src1_sel:DWORD
	v_fma_f16 v26, v27, v79, v26
	v_lshrrev_b32_e32 v27, 16, v80
	v_mul_f16_sdwa v76, v139, v27 dst_sel:DWORD dst_unused:UNUSED_PAD src0_sel:WORD_1 src1_sel:DWORD
	v_fma_f16 v77, v139, v80, v76
	v_mul_f16_sdwa v76, v139, v80 dst_sel:DWORD dst_unused:UNUSED_PAD src0_sel:WORD_1 src1_sel:DWORD
	v_fma_f16 v76, v139, v27, -v76
	v_sub_f16_e32 v27, v63, v66
	v_sub_f16_e32 v78, v75, v72
	v_add_f16_e32 v27, v27, v78
	v_sub_f16_e32 v78, v61, v65
	v_sub_f16_e32 v79, v74, v70
	v_add_f16_e32 v78, v78, v79
	v_sub_f16_e32 v79, v62, v68
	v_sub_f16_e32 v80, v77, v71
	v_add_f16_e32 v132, v79, v80
	v_sub_f16_e32 v79, v60, v67
	v_sub_f16_e32 v80, v76, v69
	v_add_f16_e32 v133, v79, v80
	v_add_f16_e32 v79, v68, v71
	v_fma_f16 v134, v79, -0.5, v59
	v_sub_f16_e32 v135, v60, v76
	v_fma_f16 v79, v135, s12, v134
	v_sub_f16_e32 v136, v67, v69
	v_fma_f16 v79, v136, s7, v79
	v_fma_f16 v81, v132, s6, v79
	v_add_f16_e32 v79, v67, v69
	v_fma_f16 v138, v79, -0.5, v58
	v_sub_f16_e32 v139, v62, v77
	v_fma_f16 v79, v139, s1, v138
	v_sub_f16_e32 v140, v68, v71
	v_fma_f16 v79, v140, s0, v79
	v_fma_f16 v82, v133, s6, v79
	ds_read2_b32 v[79:80], v123 offset1:100
	v_mul_f16_e32 v141, 0xb8b4, v82
	v_mul_f16_e32 v82, 0x3a79, v82
	v_fma_f16 v141, v81, s13, v141
	v_fma_f16 v142, v81, s0, v82
	s_waitcnt lgkmcnt(0)
	v_add_f16_e32 v81, v79, v63
	v_add_f16_e32 v81, v81, v66
	;; [unrolled: 1-line block ×3, first 2 shown]
	v_lshrrev_b32_e32 v144, 16, v79
	v_add_f16_e32 v143, v81, v75
	v_add_f16_e32 v81, v144, v61
	;; [unrolled: 1-line block ×15, first 2 shown]
	v_pack_b32_f16 v150, v81, v82
	v_add_f16_e32 v81, v66, v72
	v_sub_f16_e32 v163, v63, v75
	v_sub_f16_e32 v164, v66, v72
	;; [unrolled: 1-line block ×3, first 2 shown]
	v_add_f16_e32 v63, v63, v75
	v_sub_f16_e32 v160, v65, v70
	v_sub_f16_e32 v72, v72, v75
	v_fma_f16 v63, v63, -0.5, v79
	v_fma_f16 v158, v81, -0.5, v79
	v_sub_f16_e32 v159, v61, v74
	v_add_f16_e32 v66, v66, v72
	v_fma_f16 v72, v160, s1, v63
	v_fma_f16 v63, v160, s12, v63
	;; [unrolled: 1-line block ×8, first 2 shown]
	v_add_f16_e32 v66, v61, v74
	v_fma_f16 v161, v27, s6, v81
	v_add_f16_e32 v81, v65, v70
	v_fma_f16 v66, v66, -0.5, v144
	v_sub_f16_e32 v61, v65, v61
	v_sub_f16_e32 v65, v70, v74
	v_add_f16_e32 v61, v61, v65
	v_fma_f16 v65, v164, s12, v66
	v_fma_f16 v66, v164, s1, v66
	v_fma_f16 v65, v163, s0, v65
	v_fma_f16 v66, v163, s7, v66
	v_fma_f16 v65, v61, s6, v65
	v_fma_f16 v61, v61, s6, v66
	v_add_f16_e32 v66, v62, v77
	v_fma_f16 v59, v66, -0.5, v59
	v_sub_f16_e32 v62, v68, v62
	v_sub_f16_e32 v66, v71, v77
	v_add_f16_e32 v62, v62, v66
	v_fma_f16 v66, v136, s1, v59
	v_fma_f16 v59, v136, s12, v59
	v_fma_f16 v66, v135, s7, v66
	v_fma_f16 v59, v135, s0, v59
	v_fma_f16 v66, v62, s6, v66
	;; [unrolled: 11-line block ×3, first 2 shown]
	v_fma_f16 v162, v81, -0.5, v144
	v_fma_f16 v58, v60, s6, v58
	v_mul_f16_e32 v60, 0xbb9c, v62
	v_mul_f16_e32 v62, 0x34f2, v62
	v_fma_f16 v81, v163, s1, v162
	v_fma_f16 v60, v66, s6, v60
	;; [unrolled: 1-line block ×3, first 2 shown]
	v_mul_f16_e32 v66, 0xbb9c, v58
	v_mul_f16_e32 v58, 0xb4f2, v58
	v_fma_f16 v81, v164, s0, v81
	v_fma_f16 v66, v59, s2, v66
	;; [unrolled: 1-line block ×3, first 2 shown]
	v_add_f16_e32 v59, v72, v60
	v_add_f16_e32 v67, v65, v62
	v_fma_f16 v165, v78, s6, v81
	v_pack_b32_f16 v59, v59, v67
	v_add_f16_e32 v67, v63, v66
	v_add_f16_e32 v68, v61, v58
	;; [unrolled: 1-line block ×4, first 2 shown]
	v_pack_b32_f16 v67, v67, v68
	v_pack_b32_f16 v166, v81, v82
	ds_read2_b32 v[81:82], v97 offset0:112 offset1:212
	s_waitcnt lgkmcnt(0)
	s_barrier
	ds_write2_b32 v146, v59, v67 offset0:60 offset1:90
	v_fma_f16 v59, v159, s1, v158
	v_fma_f16 v68, v139, s12, v138
	;; [unrolled: 1-line block ×11, first 2 shown]
	v_mul_f16_e32 v69, 0xb8b4, v68
	v_mul_f16_e32 v68, 0xba79, v68
	v_fma_f16 v59, v78, s6, v59
	v_fma_f16 v69, v67, s3, v69
	;; [unrolled: 1-line block ×3, first 2 shown]
	v_sub_f16_e32 v68, v143, v147
	v_sub_f16_e32 v70, v145, v148
	v_add_f16_e32 v71, v27, v69
	v_add_f16_e32 v74, v59, v67
	v_pack_b32_f16 v71, v71, v74
	v_pack_b32_f16 v68, v68, v70
	ds_write2_b32 v146, v71, v68 offset0:120 offset1:150
	v_sub_f16_e32 v68, v161, v141
	v_sub_f16_e32 v60, v72, v60
	;; [unrolled: 1-line block ×4, first 2 shown]
	v_pack_b32_f16 v65, v68, v70
	v_pack_b32_f16 v60, v60, v62
	ds_write2_b32 v146, v65, v60 offset0:180 offset1:210
	v_sub_f16_e32 v60, v63, v66
	v_sub_f16_e32 v27, v27, v69
	;; [unrolled: 1-line block ×4, first 2 shown]
	v_pack_b32_f16 v58, v60, v58
	v_pack_b32_f16 v27, v27, v59
	ds_write2_b32 v155, v58, v27 offset0:112 offset1:142
	v_lshrrev_b32_e32 v27, 16, v81
	v_mul_f16_sdwa v58, v149, v81 dst_sel:DWORD dst_unused:UNUSED_PAD src0_sel:WORD_1 src1_sel:DWORD
	v_fma_f16 v58, v149, v27, -v58
	v_mul_f16_sdwa v27, v149, v27 dst_sel:DWORD dst_unused:UNUSED_PAD src0_sel:WORD_1 src1_sel:DWORD
	v_sub_f16_e32 v63, v53, v57
	v_sub_f16_e32 v65, v64, v37
	v_fma_f16 v27, v149, v81, v27
	v_add_f16_e32 v63, v63, v65
	v_sub_f16_e32 v65, v50, v55
	v_sub_f16_e32 v66, v39, v36
	v_add_f16_e32 v65, v65, v66
	v_sub_f16_e32 v66, v56, v38
	v_sub_f16_e32 v67, v27, v30
	;; [unrolled: 3-line block ×3, first 2 shown]
	v_add_f16_e32 v72, v29, v31
	v_add_f16_e32 v67, v67, v68
	;; [unrolled: 1-line block ×3, first 2 shown]
	v_fma_f16 v72, v72, -0.5, v51
	v_sub_f16_e32 v74, v56, v27
	v_fma_f16 v68, v68, -0.5, v54
	v_sub_f16_e32 v69, v52, v58
	v_fma_f16 v75, v74, s1, v72
	v_sub_f16_e32 v76, v38, v30
	v_fma_f16 v70, v69, s12, v68
	;; [unrolled: 2-line block ×3, first 2 shown]
	v_fma_f16 v70, v71, s7, v70
	v_fma_f16 v75, v67, s6, v75
	v_lshrrev_b32_e32 v61, 16, v80
	v_fma_f16 v70, v66, s6, v70
	v_mul_f16_e32 v77, 0xb8b4, v75
	v_mul_f16_e32 v75, 0x3a79, v75
	v_add_f16_e32 v62, v80, v53
	v_fma_f16 v77, v70, s13, v77
	v_fma_f16 v70, v70, s0, v75
	v_add_f16_e32 v75, v61, v50
	v_add_f16_e32 v78, v54, v56
	v_add_f16_e32 v79, v51, v52
	v_add_f16_e32 v62, v62, v57
	v_add_f16_e32 v75, v75, v55
	v_add_f16_e32 v78, v78, v38
	v_add_f16_e32 v79, v79, v29
	v_add_f16_e32 v62, v62, v37
	v_add_f16_e32 v75, v75, v36
	v_add_f16_e32 v78, v78, v30
	v_add_f16_e32 v79, v79, v31
	v_add_f16_e32 v59, v57, v37
	v_add_f16_e32 v60, v53, v64
	v_add_f16_e32 v62, v62, v64
	v_add_f16_e32 v75, v75, v39
	v_add_f16_e32 v78, v78, v27
	v_add_f16_e32 v79, v79, v58
	v_fma_f16 v59, v59, -0.5, v80
	v_fma_f16 v60, v60, -0.5, v80
	v_add_f16_e32 v80, v62, v78
	v_add_f16_e32 v81, v75, v79
	v_sub_f16_e32 v133, v55, v36
	v_sub_f16_e32 v135, v53, v64
	;; [unrolled: 1-line block ×5, first 2 shown]
	v_pack_b32_f16 v80, v80, v81
	v_sub_f16_e32 v81, v50, v39
	v_add_f16_e32 v37, v53, v37
	v_fma_f16 v53, v133, s1, v60
	v_fma_f16 v57, v133, s12, v60
	;; [unrolled: 1-line block ×6, first 2 shown]
	v_add_f16_e32 v57, v50, v39
	v_add_f16_e32 v134, v55, v36
	v_fma_f16 v57, v57, -0.5, v61
	v_sub_f16_e32 v50, v55, v50
	v_sub_f16_e32 v36, v36, v39
	v_add_f16_e32 v36, v50, v36
	v_fma_f16 v39, v138, s12, v57
	v_fma_f16 v50, v138, s1, v57
	v_fma_f16 v39, v135, s0, v39
	v_fma_f16 v50, v135, s7, v50
	v_fma_f16 v39, v36, s6, v39
	v_fma_f16 v36, v36, s6, v50
	v_add_f16_e32 v50, v56, v27
	v_fma_f16 v50, v50, -0.5, v54
	v_sub_f16_e32 v38, v38, v56
	v_sub_f16_e32 v27, v30, v27
	v_add_f16_e32 v27, v38, v27
	v_fma_f16 v30, v71, s1, v50
	v_fma_f16 v38, v71, s12, v50
	v_fma_f16 v30, v69, s7, v30
	v_fma_f16 v38, v69, s0, v38
	v_fma_f16 v30, v27, s6, v30
	v_fma_f16 v27, v27, s6, v38
	;; [unrolled: 11-line block ×3, first 2 shown]
	v_mul_f16_e32 v38, 0xbb9c, v31
	v_mul_f16_e32 v31, 0x34f2, v31
	v_fma_f16 v38, v30, s6, v38
	v_fma_f16 v30, v30, s1, v31
	v_mul_f16_e32 v31, 0xbb9c, v29
	v_mul_f16_e32 v29, 0xb4f2, v29
	v_fma_f16 v31, v27, s2, v31
	v_fma_f16 v27, v27, s1, v29
	v_add_f16_e32 v29, v53, v38
	v_add_f16_e32 v50, v39, v30
	v_pack_b32_f16 v29, v29, v50
	v_add_f16_e32 v50, v37, v31
	v_add_f16_e32 v51, v36, v27
	v_fma_f16 v52, v74, s12, v72
	v_fma_f16 v134, v134, -0.5, v61
	v_pack_b32_f16 v50, v50, v51
	v_fma_f16 v51, v69, s1, v68
	v_fma_f16 v52, v76, s7, v52
	ds_write2_b32 v146, v150, v166 offset1:30
	ds_write2_b32 v151, v29, v50 offset0:60 offset1:90
	v_fma_f16 v29, v81, s1, v59
	v_fma_f16 v50, v135, s12, v134
	;; [unrolled: 1-line block ×7, first 2 shown]
	v_mul_f16_e32 v54, 0xb8b4, v52
	v_mul_f16_e32 v52, 0xba79, v52
	v_fma_f16 v132, v81, s12, v59
	v_fma_f16 v136, v135, s1, v134
	;; [unrolled: 1-line block ×8, first 2 shown]
	v_sub_f16_e32 v52, v62, v78
	v_sub_f16_e32 v55, v75, v79
	v_add_f16_e32 v56, v29, v54
	v_add_f16_e32 v57, v50, v51
	v_fma_f16 v132, v63, s6, v132
	v_fma_f16 v136, v65, s6, v136
	v_pack_b32_f16 v56, v56, v57
	v_pack_b32_f16 v52, v52, v55
	ds_write2_b32 v151, v56, v52 offset0:120 offset1:150
	v_sub_f16_e32 v52, v132, v77
	v_sub_f16_e32 v38, v53, v38
	;; [unrolled: 1-line block ×4, first 2 shown]
	v_pack_b32_f16 v39, v52, v53
	v_pack_b32_f16 v30, v38, v30
	ds_write2_b32 v151, v39, v30 offset0:180 offset1:210
	v_sub_f16_e32 v30, v37, v31
	v_sub_f16_e32 v29, v29, v54
	;; [unrolled: 1-line block ×4, first 2 shown]
	v_pack_b32_f16 v27, v30, v27
	v_pack_b32_f16 v29, v29, v31
	ds_write2_b32 v156, v27, v29 offset0:112 offset1:142
	v_lshrrev_b32_e32 v27, 16, v82
	v_mul_f16_sdwa v30, v137, v82 dst_sel:DWORD dst_unused:UNUSED_PAD src0_sel:WORD_1 src1_sel:DWORD
	v_mul_f16_sdwa v29, v137, v27 dst_sel:DWORD dst_unused:UNUSED_PAD src0_sel:WORD_1 src1_sel:DWORD
	v_fma_f16 v27, v137, v27, -v30
	v_add_f16_e32 v30, v35, v28
	v_add_f16_e32 v31, v33, v26
	v_sub_f16_e32 v38, v33, v35
	v_sub_f16_e32 v39, v26, v28
	v_fma_f16 v29, v137, v82, v29
	v_fma_f16 v30, v30, -0.5, v49
	v_fma_f16 v31, v31, -0.5, v49
	v_lshrrev_b32_e32 v36, 16, v49
	v_add_f16_e32 v37, v49, v33
	v_add_f16_e32 v38, v38, v39
	v_sub_f16_e32 v39, v32, v34
	v_sub_f16_e32 v49, v25, v24
	v_add_f16_e32 v39, v39, v49
	v_sub_f16_e32 v49, v7, v1
	v_sub_f16_e32 v50, v29, v3
	;; [unrolled: 3-line block ×3, first 2 shown]
	v_add_f16_e32 v55, v0, v2
	v_add_f16_e32 v50, v50, v51
	;; [unrolled: 1-line block ×3, first 2 shown]
	v_fma_f16 v55, v55, -0.5, v4
	v_sub_f16_e32 v56, v7, v29
	v_fma_f16 v51, v51, -0.5, v5
	v_sub_f16_e32 v52, v6, v27
	v_fma_f16 v57, v56, s1, v55
	v_sub_f16_e32 v58, v1, v3
	v_fma_f16 v53, v52, s12, v51
	v_sub_f16_e32 v54, v0, v2
	v_fma_f16 v57, v58, s0, v57
	v_fma_f16 v53, v54, s7, v53
	v_fma_f16 v57, v50, s6, v57
	;; [unrolled: 1-line block ×3, first 2 shown]
	v_mul_f16_e32 v59, 0xb8b4, v57
	v_mul_f16_e32 v57, 0x3a79, v57
	v_fma_f16 v59, v53, s13, v59
	v_fma_f16 v53, v53, s0, v57
	v_add_f16_e32 v57, v36, v32
	v_add_f16_e32 v60, v5, v7
	;; [unrolled: 1-line block ×17, first 2 shown]
	v_sub_f16_e32 v65, v34, v24
	v_pack_b32_f16 v62, v62, v63
	v_sub_f16_e32 v63, v32, v25
	v_sub_f16_e32 v67, v33, v26
	;; [unrolled: 1-line block ×5, first 2 shown]
	v_fma_f16 v28, v65, s1, v31
	v_fma_f16 v31, v65, s12, v31
	v_add_f16_e32 v26, v33, v26
	v_fma_f16 v28, v63, s7, v28
	v_fma_f16 v31, v63, s0, v31
	;; [unrolled: 1-line block ×4, first 2 shown]
	v_add_f16_e32 v31, v32, v25
	v_fma_f16 v31, v31, -0.5, v36
	v_add_f16_e32 v66, v34, v24
	v_sub_f16_e32 v32, v34, v32
	v_sub_f16_e32 v24, v24, v25
	v_fma_f16 v25, v69, s12, v31
	v_fma_f16 v31, v69, s1, v31
	v_add_f16_e32 v24, v32, v24
	v_fma_f16 v25, v67, s0, v25
	v_fma_f16 v31, v67, s7, v31
	;; [unrolled: 1-line block ×4, first 2 shown]
	v_add_f16_e32 v31, v7, v29
	v_fma_f16 v5, v31, -0.5, v5
	v_sub_f16_e32 v1, v1, v7
	v_sub_f16_e32 v3, v3, v29
	v_add_f16_e32 v1, v1, v3
	v_fma_f16 v3, v54, s1, v5
	v_fma_f16 v5, v54, s12, v5
	;; [unrolled: 1-line block ×6, first 2 shown]
	v_add_f16_e32 v5, v6, v27
	v_fma_f16 v4, v5, -0.5, v4
	v_sub_f16_e32 v0, v0, v6
	v_sub_f16_e32 v2, v2, v27
	v_add_f16_e32 v0, v0, v2
	v_fma_f16 v2, v58, s12, v4
	v_fma_f16 v2, v56, s0, v2
	;; [unrolled: 1-line block ×6, first 2 shown]
	v_mul_f16_e32 v4, 0xbb9c, v2
	v_mul_f16_e32 v2, 0x34f2, v2
	v_fma_f16 v4, v3, s6, v4
	v_fma_f16 v2, v3, s1, v2
	v_mul_f16_e32 v3, 0xbb9c, v0
	v_mul_f16_e32 v0, 0xb4f2, v0
	v_fma_f16 v3, v1, s2, v3
	v_fma_f16 v0, v1, s1, v0
	v_add_f16_e32 v1, v28, v4
	v_add_f16_e32 v5, v25, v2
	;; [unrolled: 1-line block ×4, first 2 shown]
	v_pack_b32_f16 v1, v1, v5
	v_add_f16_e32 v5, v26, v3
	v_add_f16_e32 v6, v24, v0
	v_fma_f16 v7, v56, s12, v55
	v_pack_b32_f16 v139, v139, v140
	v_fma_f16 v66, v66, -0.5, v36
	v_pack_b32_f16 v5, v5, v6
	v_fma_f16 v6, v52, s1, v51
	v_fma_f16 v7, v58, s7, v7
	ds_write2_b32 v151, v80, v139 offset1:30
	ds_write2_b32 v154, v1, v5 offset0:60 offset1:90
	v_fma_f16 v1, v63, s1, v30
	v_fma_f16 v5, v67, s12, v66
	;; [unrolled: 1-line block ×7, first 2 shown]
	v_mul_f16_e32 v27, 0xb8b4, v7
	v_mul_f16_e32 v7, 0xba79, v7
	v_fma_f16 v64, v63, s12, v30
	v_fma_f16 v68, v67, s1, v66
	;; [unrolled: 1-line block ×8, first 2 shown]
	v_sub_f16_e32 v7, v37, v60
	v_sub_f16_e32 v29, v57, v61
	v_add_f16_e32 v30, v1, v27
	v_add_f16_e32 v31, v5, v6
	v_fma_f16 v64, v38, s6, v64
	v_fma_f16 v68, v39, s6, v68
	v_pack_b32_f16 v30, v30, v31
	v_pack_b32_f16 v7, v7, v29
	ds_write2_b32 v154, v30, v7 offset0:120 offset1:150
	v_sub_f16_e32 v7, v64, v59
	v_sub_f16_e32 v4, v28, v4
	v_sub_f16_e32 v28, v68, v53
	v_sub_f16_e32 v2, v25, v2
	v_pack_b32_f16 v7, v7, v28
	v_pack_b32_f16 v2, v4, v2
	v_add_f16_e32 v70, v64, v59
	v_add_f16_e32 v71, v68, v53
	ds_write2_b32 v154, v7, v2 offset0:180 offset1:210
	v_sub_f16_e32 v2, v26, v3
	v_sub_f16_e32 v1, v1, v27
	;; [unrolled: 1-line block ×4, first 2 shown]
	v_pack_b32_f16 v70, v70, v71
	v_pack_b32_f16 v0, v2, v0
	;; [unrolled: 1-line block ×3, first 2 shown]
	ds_write2_b32 v154, v62, v70 offset1:30
	ds_write2_b32 v157, v0, v1 offset0:112 offset1:142
	s_waitcnt lgkmcnt(0)
	s_barrier
	ds_read2_b32 v[0:1], v131 offset0:72 offset1:172
	ds_read2_b32 v[2:3], v128 offset0:88 offset1:188
	;; [unrolled: 1-line block ×5, first 2 shown]
	s_waitcnt lgkmcnt(4)
	v_lshrrev_b32_e32 v4, 16, v1
	v_mul_f16_sdwa v5, v20, v1 dst_sel:DWORD dst_unused:UNUSED_PAD src0_sel:WORD_1 src1_sel:DWORD
	v_fma_f16 v49, v20, v4, -v5
	v_mul_f16_sdwa v4, v20, v4 dst_sel:DWORD dst_unused:UNUSED_PAD src0_sel:WORD_1 src1_sel:DWORD
	v_fma_f16 v50, v20, v1, v4
	s_waitcnt lgkmcnt(3)
	v_lshrrev_b32_e32 v1, 16, v2
	ds_read2_b32 v[4:5], v127 offset0:32 offset1:132
	v_mul_f16_sdwa v6, v21, v2 dst_sel:DWORD dst_unused:UNUSED_PAD src0_sel:WORD_1 src1_sel:DWORD
	v_fma_f16 v51, v21, v1, -v6
	v_mul_f16_sdwa v1, v21, v1 dst_sel:DWORD dst_unused:UNUSED_PAD src0_sel:WORD_1 src1_sel:DWORD
	v_fma_f16 v52, v21, v2, v1
	ds_read2_b32 v[1:2], v126 offset0:48 offset1:148
	s_waitcnt lgkmcnt(1)
	v_lshrrev_b32_e32 v6, 16, v5
	v_mul_f16_sdwa v7, v22, v5 dst_sel:DWORD dst_unused:UNUSED_PAD src0_sel:WORD_1 src1_sel:DWORD
	v_fma_f16 v53, v22, v6, -v7
	v_mul_f16_sdwa v6, v22, v6 dst_sel:DWORD dst_unused:UNUSED_PAD src0_sel:WORD_1 src1_sel:DWORD
	v_fma_f16 v54, v22, v5, v6
	s_waitcnt lgkmcnt(0)
	v_lshrrev_b32_e32 v5, 16, v1
	v_mul_f16_sdwa v6, v23, v1 dst_sel:DWORD dst_unused:UNUSED_PAD src0_sel:WORD_1 src1_sel:DWORD
	v_fma_f16 v55, v23, v5, -v6
	v_mul_f16_sdwa v5, v23, v5 dst_sel:DWORD dst_unused:UNUSED_PAD src0_sel:WORD_1 src1_sel:DWORD
	v_fma_f16 v56, v23, v1, v5
	v_lshrrev_b32_e32 v1, 16, v3
	v_mul_f16_sdwa v5, v17, v1 dst_sel:DWORD dst_unused:UNUSED_PAD src0_sel:WORD_1 src1_sel:DWORD
	v_fma_f16 v22, v17, v3, v5
	v_mul_f16_sdwa v3, v17, v3 dst_sel:DWORD dst_unused:UNUSED_PAD src0_sel:WORD_1 src1_sel:DWORD
	v_fma_f16 v20, v17, v1, -v3
	v_lshrrev_b32_e32 v1, 16, v2
	ds_read2_b32 v[5:6], v109 offset0:144 offset1:244
	v_mul_f16_sdwa v3, v19, v1 dst_sel:DWORD dst_unused:UNUSED_PAD src0_sel:WORD_1 src1_sel:DWORD
	v_fma_f16 v24, v19, v2, v3
	v_mul_f16_sdwa v2, v19, v2 dst_sel:DWORD dst_unused:UNUSED_PAD src0_sel:WORD_1 src1_sel:DWORD
	v_fma_f16 v23, v19, v1, -v2
	ds_read2_b32 v[1:2], v107 offset0:104 offset1:204
	s_waitcnt lgkmcnt(1)
	v_lshrrev_b32_e32 v3, 16, v5
	v_mul_f16_sdwa v7, v16, v5 dst_sel:DWORD dst_unused:UNUSED_PAD src0_sel:WORD_1 src1_sel:DWORD
	v_fma_f16 v17, v16, v3, -v7
	v_mul_f16_sdwa v3, v16, v3 dst_sel:DWORD dst_unused:UNUSED_PAD src0_sel:WORD_1 src1_sel:DWORD
	v_fma_f16 v21, v16, v5, v3
	s_waitcnt lgkmcnt(0)
	v_lshrrev_b32_e32 v3, 16, v1
	v_mul_f16_sdwa v5, v18, v1 dst_sel:DWORD dst_unused:UNUSED_PAD src0_sel:WORD_1 src1_sel:DWORD
	v_fma_f16 v19, v18, v3, -v5
	v_mul_f16_sdwa v3, v18, v3 dst_sel:DWORD dst_unused:UNUSED_PAD src0_sel:WORD_1 src1_sel:DWORD
	v_fma_f16 v18, v18, v1, v3
	v_lshrrev_b32_e32 v1, 16, v6
	v_mul_f16_sdwa v5, v44, v6 dst_sel:DWORD dst_unused:UNUSED_PAD src0_sel:WORD_1 src1_sel:DWORD
	v_mul_f16_sdwa v3, v44, v1 dst_sel:DWORD dst_unused:UNUSED_PAD src0_sel:WORD_1 src1_sel:DWORD
	v_fma_f16 v1, v44, v1, -v5
	v_lshrrev_b32_e32 v5, 16, v4
	v_fma_f16 v3, v44, v6, v3
	v_mul_f16_sdwa v6, v45, v5 dst_sel:DWORD dst_unused:UNUSED_PAD src0_sel:WORD_1 src1_sel:DWORD
	v_fma_f16 v6, v45, v4, v6
	v_mul_f16_sdwa v4, v45, v4 dst_sel:DWORD dst_unused:UNUSED_PAD src0_sel:WORD_1 src1_sel:DWORD
	v_lshrrev_b32_e32 v7, 16, v2
	v_fma_f16 v5, v45, v5, -v4
	v_mul_f16_sdwa v4, v46, v7 dst_sel:DWORD dst_unused:UNUSED_PAD src0_sel:WORD_1 src1_sel:DWORD
	v_fma_f16 v4, v46, v2, v4
	v_mul_f16_sdwa v2, v46, v2 dst_sel:DWORD dst_unused:UNUSED_PAD src0_sel:WORD_1 src1_sel:DWORD
	v_fma_f16 v2, v46, v7, -v2
	v_lshrrev_b32_e32 v16, 16, v25
	v_mul_f16_sdwa v7, v47, v25 dst_sel:DWORD dst_unused:UNUSED_PAD src0_sel:WORD_1 src1_sel:DWORD
	v_fma_f16 v7, v47, v16, -v7
	v_mul_f16_sdwa v16, v47, v16 dst_sel:DWORD dst_unused:UNUSED_PAD src0_sel:WORD_1 src1_sel:DWORD
	v_fma_f16 v16, v47, v25, v16
	v_lshrrev_b32_e32 v25, 16, v26
	v_mul_f16_sdwa v29, v12, v25 dst_sel:DWORD dst_unused:UNUSED_PAD src0_sel:WORD_1 src1_sel:DWORD
	v_fma_f16 v44, v12, v26, v29
	v_mul_f16_sdwa v26, v12, v26 dst_sel:DWORD dst_unused:UNUSED_PAD src0_sel:WORD_1 src1_sel:DWORD
	v_fma_f16 v45, v12, v25, -v26
	v_lshrrev_b32_e32 v12, 16, v27
	v_mul_f16_sdwa v25, v13, v27 dst_sel:DWORD dst_unused:UNUSED_PAD src0_sel:WORD_1 src1_sel:DWORD
	v_fma_f16 v46, v13, v12, -v25
	v_mul_f16_sdwa v12, v13, v12 dst_sel:DWORD dst_unused:UNUSED_PAD src0_sel:WORD_1 src1_sel:DWORD
	v_fma_f16 v47, v13, v27, v12
	ds_read2_b32 v[12:13], v120 offset0:96 offset1:196
	v_lshrrev_b32_e32 v25, 16, v35
	v_mul_f16_sdwa v26, v14, v35 dst_sel:DWORD dst_unused:UNUSED_PAD src0_sel:WORD_1 src1_sel:DWORD
	v_fma_f16 v57, v14, v25, -v26
	v_mul_f16_sdwa v25, v14, v25 dst_sel:DWORD dst_unused:UNUSED_PAD src0_sel:WORD_1 src1_sel:DWORD
	v_fma_f16 v58, v14, v35, v25
	s_waitcnt lgkmcnt(0)
	v_lshrrev_b32_e32 v14, 16, v12
	v_mul_f16_sdwa v25, v15, v12 dst_sel:DWORD dst_unused:UNUSED_PAD src0_sel:WORD_1 src1_sel:DWORD
	v_fma_f16 v59, v15, v14, -v25
	v_mul_f16_sdwa v14, v15, v14 dst_sel:DWORD dst_unused:UNUSED_PAD src0_sel:WORD_1 src1_sel:DWORD
	v_fma_f16 v60, v15, v12, v14
	v_lshrrev_b32_e32 v12, 16, v28
	v_mul_f16_sdwa v14, v9, v12 dst_sel:DWORD dst_unused:UNUSED_PAD src0_sel:WORD_1 src1_sel:DWORD
	v_fma_f16 v33, v9, v28, v14
	v_mul_f16_sdwa v14, v9, v28 dst_sel:DWORD dst_unused:UNUSED_PAD src0_sel:WORD_1 src1_sel:DWORD
	v_fma_f16 v31, v9, v12, -v14
	v_lshrrev_b32_e32 v9, 16, v13
	ds_read2_b32 v[14:15], v106 offset0:64 offset1:164
	v_mul_f16_sdwa v12, v11, v9 dst_sel:DWORD dst_unused:UNUSED_PAD src0_sel:WORD_1 src1_sel:DWORD
	v_fma_f16 v35, v11, v13, v12
	v_mul_f16_sdwa v12, v11, v13 dst_sel:DWORD dst_unused:UNUSED_PAD src0_sel:WORD_1 src1_sel:DWORD
	v_fma_f16 v32, v11, v9, -v12
	ds_read2_b32 v[11:12], v103 offset0:152 offset1:252
	s_waitcnt lgkmcnt(1)
	v_lshrrev_b32_e32 v9, 16, v14
	v_mul_f16_sdwa v13, v8, v14 dst_sel:DWORD dst_unused:UNUSED_PAD src0_sel:WORD_1 src1_sel:DWORD
	v_fma_f16 v27, v8, v9, -v13
	v_mul_f16_sdwa v9, v8, v9 dst_sel:DWORD dst_unused:UNUSED_PAD src0_sel:WORD_1 src1_sel:DWORD
	v_fma_f16 v29, v8, v14, v9
	s_waitcnt lgkmcnt(0)
	v_lshrrev_b32_e32 v8, 16, v11
	v_mul_f16_sdwa v9, v10, v11 dst_sel:DWORD dst_unused:UNUSED_PAD src0_sel:WORD_1 src1_sel:DWORD
	v_fma_f16 v28, v10, v8, -v9
	v_mul_f16_sdwa v8, v10, v8 dst_sel:DWORD dst_unused:UNUSED_PAD src0_sel:WORD_1 src1_sel:DWORD
	v_fma_f16 v30, v10, v11, v8
	v_lshrrev_b32_e32 v8, 16, v15
	v_mul_f16_sdwa v9, v40, v8 dst_sel:DWORD dst_unused:UNUSED_PAD src0_sel:WORD_1 src1_sel:DWORD
	v_fma_f16 v10, v40, v15, v9
	v_mul_f16_sdwa v9, v40, v15 dst_sel:DWORD dst_unused:UNUSED_PAD src0_sel:WORD_1 src1_sel:DWORD
	v_fma_f16 v8, v40, v8, -v9
	v_lshrrev_b32_e32 v9, 16, v34
	v_mul_f16_sdwa v11, v41, v9 dst_sel:DWORD dst_unused:UNUSED_PAD src0_sel:WORD_1 src1_sel:DWORD
	ds_read2_b32 v[36:37], v117 offset0:40 offset1:140
	v_fma_f16 v25, v41, v34, v11
	v_mul_f16_sdwa v11, v41, v34 dst_sel:DWORD dst_unused:UNUSED_PAD src0_sel:WORD_1 src1_sel:DWORD
	v_fma_f16 v14, v41, v9, -v11
	v_lshrrev_b32_e32 v9, 16, v12
	v_mul_f16_sdwa v11, v42, v9 dst_sel:DWORD dst_unused:UNUSED_PAD src0_sel:WORD_1 src1_sel:DWORD
	v_fma_f16 v11, v42, v12, v11
	v_mul_f16_sdwa v12, v42, v12 dst_sel:DWORD dst_unused:UNUSED_PAD src0_sel:WORD_1 src1_sel:DWORD
	v_fma_f16 v9, v42, v9, -v12
	s_waitcnt lgkmcnt(0)
	v_lshrrev_b32_e32 v12, 16, v36
	v_mul_f16_sdwa v13, v43, v36 dst_sel:DWORD dst_unused:UNUSED_PAD src0_sel:WORD_1 src1_sel:DWORD
	ds_read2_b32 v[38:39], v97 offset0:112 offset1:212
	v_fma_f16 v15, v43, v12, -v13
	v_mul_f16_sdwa v12, v43, v12 dst_sel:DWORD dst_unused:UNUSED_PAD src0_sel:WORD_1 src1_sel:DWORD
	v_fma_f16 v26, v43, v36, v12
	v_lshrrev_b32_e32 v12, 16, v37
	v_mul_f16_sdwa v13, v153, v12 dst_sel:DWORD dst_unused:UNUSED_PAD src0_sel:WORD_1 src1_sel:DWORD
	v_fma_f16 v40, v153, v37, v13
	v_mul_f16_sdwa v13, v153, v37 dst_sel:DWORD dst_unused:UNUSED_PAD src0_sel:WORD_1 src1_sel:DWORD
	v_fma_f16 v41, v153, v12, -v13
	s_waitcnt lgkmcnt(0)
	v_lshrrev_b32_e32 v12, 16, v38
	v_mul_f16_sdwa v13, v152, v38 dst_sel:DWORD dst_unused:UNUSED_PAD src0_sel:WORD_1 src1_sel:DWORD
	v_fma_f16 v34, v152, v12, -v13
	v_mul_f16_sdwa v12, v152, v12 dst_sel:DWORD dst_unused:UNUSED_PAD src0_sel:WORD_1 src1_sel:DWORD
	v_fma_f16 v36, v152, v38, v12
	v_lshrrev_b32_e32 v12, 16, v39
	v_mul_f16_sdwa v37, v73, v39 dst_sel:DWORD dst_unused:UNUSED_PAD src0_sel:WORD_1 src1_sel:DWORD
	v_mul_f16_sdwa v13, v73, v12 dst_sel:DWORD dst_unused:UNUSED_PAD src0_sel:WORD_1 src1_sel:DWORD
	v_fma_f16 v12, v73, v12, -v37
	ds_read2_b32 v[37:38], v123 offset1:100
	v_fma_f16 v13, v73, v39, v13
	v_sub_f16_e32 v39, v52, v56
	v_sub_f16_e32 v42, v60, v47
	v_add_f16_e32 v39, v39, v42
	v_add_f16_e32 v42, v56, v47
	s_waitcnt lgkmcnt(0)
	v_fma_f16 v42, v42, -0.5, v37
	v_sub_f16_e32 v43, v51, v59
	v_fma_f16 v61, v43, s12, v42
	v_sub_f16_e32 v62, v55, v46
	v_fma_f16 v42, v43, s1, v42
	v_fma_f16 v61, v62, s7, v61
	;; [unrolled: 1-line block ×5, first 2 shown]
	v_sub_f16_e32 v42, v56, v52
	v_sub_f16_e32 v63, v47, v60
	v_add_f16_e32 v42, v42, v63
	v_add_f16_e32 v63, v52, v60
	v_fma_f16 v63, v63, -0.5, v37
	v_fma_f16 v64, v62, s1, v63
	v_fma_f16 v62, v62, s12, v63
	v_fma_f16 v63, v43, s7, v64
	v_fma_f16 v43, v43, s0, v62
	v_fma_f16 v62, v42, s6, v63
	v_fma_f16 v42, v42, s6, v43
	v_add_f16_e32 v43, v37, v52
	v_add_f16_e32 v43, v43, v56
	;; [unrolled: 1-line block ×4, first 2 shown]
	v_sub_f16_e32 v52, v52, v60
	v_sub_f16_e32 v47, v56, v47
	;; [unrolled: 1-line block ×4, first 2 shown]
	v_add_f16_e32 v56, v56, v60
	v_lshrrev_b32_e32 v37, 16, v37
	v_add_f16_e32 v60, v55, v46
	v_fma_f16 v60, v60, -0.5, v37
	v_fma_f16 v63, v52, s1, v60
	v_fma_f16 v60, v52, s12, v60
	;; [unrolled: 1-line block ×6, first 2 shown]
	v_add_f16_e32 v60, v51, v59
	v_fma_f16 v60, v60, -0.5, v37
	v_add_f16_e32 v37, v37, v51
	v_add_f16_e32 v37, v37, v55
	v_sub_f16_e32 v51, v55, v51
	v_add_f16_e32 v37, v37, v46
	v_sub_f16_e32 v46, v46, v59
	v_add_f16_e32 v46, v51, v46
	v_fma_f16 v51, v47, s12, v60
	v_fma_f16 v47, v47, s1, v60
	;; [unrolled: 1-line block ×6, first 2 shown]
	v_sub_f16_e32 v47, v54, v44
	v_sub_f16_e32 v52, v40, v58
	v_add_f16_e32 v47, v47, v52
	v_add_f16_e32 v52, v44, v58
	v_fma_f16 v52, v52, -0.5, v50
	v_sub_f16_e32 v55, v53, v41
	v_add_f16_e32 v37, v37, v59
	v_fma_f16 v59, v55, s12, v52
	v_sub_f16_e32 v60, v45, v57
	v_fma_f16 v52, v55, s1, v52
	v_fma_f16 v59, v60, s7, v59
	;; [unrolled: 1-line block ×5, first 2 shown]
	v_sub_f16_e32 v52, v44, v54
	v_sub_f16_e32 v64, v58, v40
	v_add_f16_e32 v52, v52, v64
	v_add_f16_e32 v64, v54, v40
	v_fma_f16 v64, v64, -0.5, v50
	v_add_f16_e32 v50, v50, v54
	v_fma_f16 v65, v60, s1, v64
	v_fma_f16 v60, v60, s12, v64
	v_add_f16_e32 v50, v50, v44
	v_fma_f16 v64, v55, s7, v65
	v_fma_f16 v55, v55, s0, v60
	;; [unrolled: 3-line block ×3, first 2 shown]
	v_add_f16_e32 v50, v50, v40
	v_sub_f16_e32 v40, v54, v40
	v_sub_f16_e32 v54, v53, v45
	;; [unrolled: 1-line block ×3, first 2 shown]
	v_add_f16_e32 v54, v54, v55
	v_add_f16_e32 v55, v45, v57
	v_fma_f16 v55, v55, -0.5, v49
	v_sub_f16_e32 v44, v44, v58
	v_fma_f16 v58, v40, s1, v55
	v_fma_f16 v55, v40, s12, v55
	;; [unrolled: 1-line block ×6, first 2 shown]
	v_add_f16_e32 v55, v53, v41
	v_fma_f16 v55, v55, -0.5, v49
	v_add_f16_e32 v49, v49, v53
	v_add_f16_e32 v49, v49, v45
	;; [unrolled: 1-line block ×3, first 2 shown]
	v_sub_f16_e32 v45, v45, v53
	v_add_f16_e32 v49, v49, v41
	v_sub_f16_e32 v41, v57, v41
	v_add_f16_e32 v41, v45, v41
	v_fma_f16 v45, v44, s12, v55
	v_fma_f16 v44, v44, s1, v55
	;; [unrolled: 1-line block ×5, first 2 shown]
	v_mul_f16_e32 v55, 0xbb9c, v40
	v_mul_f16_e32 v40, 0xb4f2, v40
	v_fma_f16 v55, v52, s2, v55
	v_fma_f16 v40, v52, s1, v40
	v_mul_f16_e32 v52, 0xb8b4, v54
	v_fma_f16 v44, v41, s6, v45
	v_mul_f16_e32 v41, 0xb8b4, v58
	v_mul_f16_e32 v45, 0x3a79, v58
	v_fma_f16 v52, v47, s3, v52
	v_mul_f16_e32 v54, 0xba79, v54
	v_fma_f16 v41, v59, s13, v41
	v_fma_f16 v45, v59, s0, v45
	v_mul_f16_e32 v53, 0xbb9c, v44
	v_mul_f16_e32 v44, 0x34f2, v44
	v_fma_f16 v47, v47, s0, v54
	v_add_f16_e32 v54, v43, v50
	v_sub_f16_e32 v43, v43, v50
	v_add_f16_e32 v58, v42, v55
	v_sub_f16_e32 v42, v42, v55
	;; [unrolled: 2-line block ×4, first 2 shown]
	v_fma_f16 v53, v60, s6, v53
	v_fma_f16 v44, v60, s1, v44
	v_add_f16_e32 v50, v61, v41
	v_sub_f16_e32 v41, v61, v41
	v_add_f16_e32 v49, v63, v45
	v_sub_f16_e32 v45, v63, v45
	v_pack_b32_f16 v37, v43, v37
	v_add_f16_e32 v57, v62, v53
	v_sub_f16_e32 v53, v62, v53
	v_add_f16_e32 v59, v51, v44
	v_sub_f16_e32 v44, v51, v44
	ds_write_b32 v123, v37 offset:6000
	v_pack_b32_f16 v37, v41, v45
	v_add_f16_e32 v51, v46, v40
	v_sub_f16_e32 v40, v46, v40
	ds_write_b32 v123, v37 offset:7200
	v_pack_b32_f16 v37, v53, v44
	v_add_f16_e32 v46, v56, v47
	v_sub_f16_e32 v47, v56, v47
	v_add_f16_e32 v56, v24, v33
	v_add_f16_e32 v60, v22, v35
	ds_write_b32 v123, v37 offset:8400
	v_pack_b32_f16 v37, v42, v40
	v_fma_f16 v56, v56, -0.5, v38
	v_fma_f16 v60, v60, -0.5, v38
	v_lshrrev_b32_e32 v61, 16, v38
	v_add_f16_e32 v38, v38, v22
	ds_write_b32 v123, v37 offset:9600
	v_pack_b32_f16 v37, v39, v47
	ds_write_b32 v123, v37 offset:10800
	v_add_f16_e32 v37, v38, v24
	v_add_f16_e32 v38, v61, v20
	;; [unrolled: 1-line block ×11, first 2 shown]
	v_pack_b32_f16 v49, v50, v49
	v_add_f16_e32 v37, v37, v35
	v_add_f16_e32 v38, v38, v32
	;; [unrolled: 1-line block ×4, first 2 shown]
	ds_write_b32 v123, v49 offset:1200
	v_pack_b32_f16 v49, v57, v59
	v_add_f16_e32 v41, v37, v39
	v_add_f16_e32 v42, v38, v40
	v_pack_b32_f16 v52, v54, v52
	ds_write_b32 v123, v49 offset:2400
	v_pack_b32_f16 v49, v58, v51
	v_pack_b32_f16 v46, v55, v46
	;; [unrolled: 1-line block ×3, first 2 shown]
	ds_write_b32 v123, v49 offset:3600
	ds_write_b32 v123, v46 offset:4800
	ds_write2_b32 v123, v52, v41 offset1:100
	v_sub_f16_e32 v41, v22, v24
	v_sub_f16_e32 v42, v35, v33
	v_add_f16_e32 v41, v41, v42
	v_sub_f16_e32 v42, v20, v32
	v_fma_f16 v43, v42, s12, v56
	v_sub_f16_e32 v44, v23, v31
	v_fma_f16 v45, v42, s1, v56
	v_fma_f16 v43, v44, s7, v43
	;; [unrolled: 1-line block ×5, first 2 shown]
	v_sub_f16_e32 v45, v24, v22
	v_sub_f16_e32 v46, v33, v35
	;; [unrolled: 1-line block ×6, first 2 shown]
	v_add_f16_e32 v45, v45, v46
	v_fma_f16 v46, v44, s1, v60
	v_fma_f16 v44, v44, s12, v60
	v_add_f16_e32 v33, v33, v35
	v_add_f16_e32 v35, v23, v31
	v_fma_f16 v46, v42, s7, v46
	v_fma_f16 v42, v42, s0, v44
	v_fma_f16 v35, v35, -0.5, v61
	v_fma_f16 v44, v45, s6, v46
	v_fma_f16 v42, v45, s6, v42
	;; [unrolled: 1-line block ×8, first 2 shown]
	v_add_f16_e32 v35, v20, v32
	v_fma_f16 v35, v35, -0.5, v61
	v_sub_f16_e32 v20, v23, v20
	v_sub_f16_e32 v23, v31, v32
	v_add_f16_e32 v20, v20, v23
	v_fma_f16 v23, v24, s12, v35
	v_fma_f16 v24, v24, s1, v35
	;; [unrolled: 1-line block ×6, first 2 shown]
	v_sub_f16_e32 v22, v18, v29
	v_sub_f16_e32 v24, v36, v30
	v_add_f16_e32 v22, v22, v24
	v_add_f16_e32 v24, v29, v30
	v_fma_f16 v24, v24, -0.5, v21
	v_sub_f16_e32 v31, v19, v34
	v_fma_f16 v32, v31, s12, v24
	v_sub_f16_e32 v35, v27, v28
	v_fma_f16 v24, v31, s1, v24
	v_fma_f16 v32, v35, s7, v32
	;; [unrolled: 1-line block ×5, first 2 shown]
	v_add_f16_e32 v24, v18, v36
	v_fma_f16 v21, v24, -0.5, v21
	v_sub_f16_e32 v24, v29, v18
	v_sub_f16_e32 v46, v30, v36
	v_add_f16_e32 v24, v24, v46
	v_fma_f16 v46, v35, s1, v21
	v_fma_f16 v21, v35, s12, v21
	;; [unrolled: 1-line block ×6, first 2 shown]
	v_sub_f16_e32 v24, v29, v30
	v_sub_f16_e32 v29, v19, v27
	;; [unrolled: 1-line block ×3, first 2 shown]
	v_add_f16_e32 v29, v29, v30
	v_add_f16_e32 v30, v27, v28
	v_sub_f16_e32 v18, v18, v36
	v_fma_f16 v30, v30, -0.5, v17
	v_fma_f16 v35, v18, s1, v30
	v_fma_f16 v30, v18, s12, v30
	;; [unrolled: 1-line block ×6, first 2 shown]
	v_add_f16_e32 v30, v19, v34
	v_fma_f16 v17, v30, -0.5, v17
	v_sub_f16_e32 v19, v27, v19
	v_sub_f16_e32 v27, v28, v34
	v_add_f16_e32 v19, v19, v27
	v_fma_f16 v27, v24, s12, v17
	v_fma_f16 v17, v24, s1, v17
	;; [unrolled: 1-line block ×6, first 2 shown]
	v_mul_f16_e32 v28, 0xbb9c, v17
	v_mul_f16_e32 v17, 0xb4f2, v17
	;; [unrolled: 1-line block ×4, first 2 shown]
	v_fma_f16 v28, v21, s2, v28
	v_fma_f16 v17, v21, s1, v17
	v_mul_f16_e32 v21, 0xb8b4, v29
	v_mul_f16_e32 v29, 0xba79, v29
	v_fma_f16 v18, v31, s1, v18
	v_fma_f16 v21, v22, s3, v21
	;; [unrolled: 1-line block ×3, first 2 shown]
	v_mul_f16_e32 v19, 0xb8b4, v35
	v_mul_f16_e32 v24, 0x3a79, v35
	v_sub_f16_e32 v29, v37, v39
	v_add_f16_e32 v34, v41, v21
	v_sub_f16_e32 v21, v41, v21
	v_sub_f16_e32 v35, v38, v40
	v_add_f16_e32 v37, v23, v18
	v_sub_f16_e32 v18, v23, v18
	v_add_f16_e32 v23, v20, v17
	;; [unrolled: 2-line block ×4, first 2 shown]
	v_add_f16_e32 v38, v6, v26
	v_sub_f16_e32 v40, v6, v16
	v_sub_f16_e32 v41, v26, v25
	v_fma_f16 v19, v32, s13, v19
	v_fma_f16 v33, v33, -0.5, v0
	v_fma_f16 v38, v38, -0.5, v0
	v_lshrrev_b32_e32 v39, 16, v0
	v_add_f16_e32 v0, v0, v6
	v_add_f16_e32 v40, v40, v41
	v_sub_f16_e32 v41, v5, v15
	v_fma_f16 v24, v32, s0, v24
	v_add_f16_e32 v30, v43, v19
	v_sub_f16_e32 v19, v43, v19
	v_add_f16_e32 v32, v42, v28
	v_sub_f16_e32 v28, v42, v28
	v_fma_f16 v42, v41, s12, v33
	v_sub_f16_e32 v43, v7, v14
	v_fma_f16 v33, v41, s1, v33
	v_add_f16_e32 v0, v0, v16
	v_fma_f16 v27, v31, s6, v27
	v_fma_f16 v42, v43, s7, v42
	;; [unrolled: 1-line block ×3, first 2 shown]
	v_add_f16_e32 v0, v0, v25
	v_add_f16_e32 v31, v44, v27
	v_sub_f16_e32 v27, v44, v27
	v_fma_f16 v42, v40, s6, v42
	v_fma_f16 v33, v40, s6, v33
	v_sub_f16_e32 v40, v16, v6
	v_sub_f16_e32 v44, v25, v26
	v_add_f16_e32 v0, v0, v26
	v_sub_f16_e32 v6, v6, v26
	v_sub_f16_e32 v16, v16, v25
	;; [unrolled: 1-line block ×4, first 2 shown]
	v_add_f16_e32 v40, v40, v44
	v_fma_f16 v44, v43, s1, v38
	v_fma_f16 v38, v43, s12, v38
	v_add_f16_e32 v25, v25, v26
	v_add_f16_e32 v26, v7, v14
	v_fma_f16 v43, v41, s7, v44
	v_fma_f16 v38, v41, s0, v38
	v_fma_f16 v26, v26, -0.5, v39
	v_fma_f16 v41, v40, s6, v43
	v_fma_f16 v38, v40, s6, v38
	v_fma_f16 v40, v6, s1, v26
	v_fma_f16 v26, v6, s12, v26
	v_fma_f16 v40, v16, s0, v40
	v_fma_f16 v26, v16, s7, v26
	v_fma_f16 v40, v25, s6, v40
	v_fma_f16 v25, v25, s6, v26
	v_add_f16_e32 v26, v5, v15
	v_fma_f16 v26, v26, -0.5, v39
	v_add_f16_e32 v39, v39, v5
	v_add_f16_e32 v39, v39, v7
	v_sub_f16_e32 v5, v7, v5
	v_add_f16_e32 v7, v39, v14
	v_sub_f16_e32 v14, v14, v15
	v_add_f16_e32 v7, v7, v15
	v_add_f16_e32 v5, v5, v14
	v_fma_f16 v14, v16, s12, v26
	v_fma_f16 v15, v16, s1, v26
	;; [unrolled: 1-line block ×6, first 2 shown]
	v_sub_f16_e32 v6, v4, v10
	v_sub_f16_e32 v15, v13, v11
	v_add_f16_e32 v6, v6, v15
	v_add_f16_e32 v15, v10, v11
	v_fma_f16 v15, v15, -0.5, v3
	v_sub_f16_e32 v16, v2, v12
	v_fma_f16 v26, v16, s12, v15
	v_sub_f16_e32 v39, v8, v9
	v_fma_f16 v15, v16, s1, v15
	v_fma_f16 v26, v39, s7, v26
	;; [unrolled: 1-line block ×5, first 2 shown]
	v_sub_f16_e32 v15, v10, v4
	v_sub_f16_e32 v43, v11, v13
	v_add_f16_e32 v15, v15, v43
	v_add_f16_e32 v43, v4, v13
	v_fma_f16 v43, v43, -0.5, v3
	v_add_f16_e32 v3, v3, v4
	v_add_f16_e32 v3, v3, v10
	;; [unrolled: 1-line block ×4, first 2 shown]
	v_sub_f16_e32 v4, v4, v13
	v_sub_f16_e32 v10, v10, v11
	;; [unrolled: 1-line block ×4, first 2 shown]
	v_fma_f16 v44, v39, s1, v43
	v_fma_f16 v39, v39, s12, v43
	v_add_f16_e32 v11, v11, v13
	v_add_f16_e32 v13, v8, v9
	v_fma_f16 v43, v16, s7, v44
	v_fma_f16 v16, v16, s0, v39
	v_fma_f16 v13, v13, -0.5, v1
	v_fma_f16 v39, v15, s6, v43
	v_fma_f16 v15, v15, s6, v16
	;; [unrolled: 1-line block ×8, first 2 shown]
	v_add_f16_e32 v13, v2, v12
	v_fma_f16 v13, v13, -0.5, v1
	v_add_f16_e32 v1, v1, v2
	v_add_f16_e32 v1, v1, v8
	v_sub_f16_e32 v2, v8, v2
	v_sub_f16_e32 v8, v9, v12
	v_add_f16_e32 v1, v1, v9
	v_add_f16_e32 v2, v2, v8
	v_fma_f16 v8, v10, s12, v13
	v_fma_f16 v9, v10, s1, v13
	;; [unrolled: 1-line block ×4, first 2 shown]
	v_mul_f16_e32 v13, 0xb8b4, v11
	v_add_f16_e32 v1, v1, v12
	v_fma_f16 v8, v2, s6, v8
	v_fma_f16 v2, v2, s6, v4
	v_mul_f16_e32 v4, 0xb8b4, v16
	v_mul_f16_e32 v9, 0x3a79, v16
	v_fma_f16 v13, v6, s3, v13
	v_mul_f16_e32 v11, 0xba79, v11
	v_fma_f16 v4, v26, s13, v4
	v_fma_f16 v9, v26, s0, v9
	v_mul_f16_e32 v10, 0xbb9c, v8
	v_mul_f16_e32 v8, 0x34f2, v8
	;; [unrolled: 1-line block ×4, first 2 shown]
	v_fma_f16 v6, v6, s0, v11
	v_add_f16_e32 v11, v0, v3
	v_sub_f16_e32 v0, v0, v3
	v_add_f16_e32 v26, v33, v13
	v_sub_f16_e32 v13, v33, v13
	;; [unrolled: 2-line block ×4, first 2 shown]
	v_fma_f16 v10, v39, s6, v10
	v_fma_f16 v8, v39, s1, v8
	;; [unrolled: 1-line block ×4, first 2 shown]
	v_add_f16_e32 v3, v42, v4
	v_sub_f16_e32 v4, v42, v4
	v_add_f16_e32 v7, v40, v9
	v_sub_f16_e32 v9, v40, v9
	v_pack_b32_f16 v29, v29, v35
	v_pack_b32_f16 v0, v0, v1
	v_add_f16_e32 v15, v41, v10
	v_sub_f16_e32 v10, v41, v10
	v_add_f16_e32 v16, v38, v12
	v_sub_f16_e32 v12, v38, v12
	v_add_f16_e32 v38, v14, v8
	v_sub_f16_e32 v8, v14, v8
	v_add_f16_e32 v14, v5, v2
	v_sub_f16_e32 v2, v5, v2
	v_add_f16_e32 v5, v25, v6
	v_sub_f16_e32 v6, v25, v6
	v_pack_b32_f16 v25, v30, v36
	v_pack_b32_f16 v19, v19, v24
	;; [unrolled: 1-line block ×3, first 2 shown]
	ds_write2_b32 v106, v29, v0 offset0:64 offset1:164
	v_pack_b32_f16 v0, v4, v9
	v_pack_b32_f16 v30, v31, v37
	;; [unrolled: 1-line block ×3, first 2 shown]
	ds_write2_b32 v109, v25, v3 offset0:144 offset1:244
	v_pack_b32_f16 v3, v15, v38
	ds_write2_b32 v124, v19, v0 offset0:108 offset1:208
	v_pack_b32_f16 v0, v10, v8
	v_pack_b32_f16 v23, v32, v23
	;; [unrolled: 1-line block ×3, first 2 shown]
	ds_write2_b32 v129, v30, v3 offset0:60 offset1:160
	v_pack_b32_f16 v3, v16, v14
	ds_write2_b32 v103, v18, v0 offset0:152 offset1:252
	v_pack_b32_f16 v0, v12, v2
	v_pack_b32_f16 v20, v34, v20
	;; [unrolled: 1-line block ×4, first 2 shown]
	ds_write2_b32 v107, v23, v3 offset0:104 offset1:204
	v_pack_b32_f16 v3, v26, v5
	ds_write2_b32 v130, v17, v0 offset0:68 offset1:168
	v_pack_b32_f16 v0, v13, v6
	ds_write_b32 v123, v11 offset:800
	ds_write2_b32 v125, v20, v3 offset0:20 offset1:120
	ds_write2_b32 v97, v21, v0 offset0:112 offset1:212
	s_waitcnt lgkmcnt(0)
	s_barrier
	ds_read2_b32 v[5:6], v123 offset1:100
	s_mov_b32 s2, 0xc3ece2a5
	s_mov_b32 s3, 0x3f35d867
	v_mad_u64_u32 v[2:3], s[0:1], s10, v48, 0
	s_waitcnt lgkmcnt(0)
	v_lshrrev_b32_e32 v7, 16, v5
	v_mul_f16_sdwa v0, v121, v7 dst_sel:DWORD dst_unused:UNUSED_PAD src0_sel:WORD_1 src1_sel:DWORD
	v_fma_f16 v0, v121, v5, v0
	v_cvt_f32_f16_e32 v0, v0
	s_movk_i32 s6, 0x1ff
	v_mad_u64_u32 v[3:4], s[0:1], s11, v48, v[3:4]
	v_cvt_f64_f32_e32 v[0:1], v0
	s_movk_i32 s7, 0xffe
	v_mul_f16_sdwa v5, v121, v5 dst_sel:DWORD dst_unused:UNUSED_PAD src0_sel:WORD_1 src1_sel:DWORD
	v_fma_f16 v5, v121, v7, -v5
	v_mul_f64 v[0:1], v[0:1], s[2:3]
	v_cvt_f32_f16_e32 v5, v5
	v_mov_b32_e32 v15, 0x7c00
	s_movk_i32 s10, 0x40f
	s_mov_b32 s11, 0x8000
	v_lshlrev_b64 v[2:3], 2, v[2:3]
	v_and_or_b32 v0, v1, s6, v0
	v_cmp_ne_u32_e32 vcc, 0, v0
	v_cndmask_b32_e64 v0, 0, 1, vcc
	v_lshrrev_b32_e32 v4, 8, v1
	v_bfe_u32 v8, v1, 20, 11
	v_and_or_b32 v0, v4, s7, v0
	v_sub_u32_e32 v9, 0x3f1, v8
	v_or_b32_e32 v4, 0x1000, v0
	v_med3_i32 v9, v9, 0, 13
	v_lshrrev_b32_e32 v10, v9, v4
	v_lshlrev_b32_e32 v9, v9, v10
	v_cmp_ne_u32_e32 vcc, v9, v4
	v_cndmask_b32_e64 v4, 0, 1, vcc
	v_add_u32_e32 v8, 0xfffffc10, v8
	v_or_b32_e32 v4, v10, v4
	v_lshl_or_b32 v9, v8, 12, v0
	v_cmp_gt_i32_e32 vcc, 1, v8
	v_cndmask_b32_e32 v4, v9, v4, vcc
	v_and_b32_e32 v9, 7, v4
	v_cmp_lt_i32_e32 vcc, 5, v9
	v_cmp_eq_u32_e64 s[0:1], 3, v9
	v_lshrrev_b32_e32 v4, 2, v4
	s_or_b64 vcc, s[0:1], vcc
	v_addc_co_u32_e32 v7, vcc, 0, v4, vcc
	v_cvt_f64_f32_e32 v[4:5], v5
	v_cmp_gt_i32_e32 vcc, 31, v8
	v_cndmask_b32_e32 v7, v15, v7, vcc
	v_cmp_ne_u32_e32 vcc, 0, v0
	v_mul_f64 v[4:5], v[4:5], s[2:3]
	v_cndmask_b32_e64 v0, 0, 1, vcc
	v_lshl_or_b32 v0, v0, 9, v15
	v_cmp_eq_u32_e32 vcc, s10, v8
	v_cndmask_b32_e32 v0, v7, v0, vcc
	v_lshrrev_b32_e32 v1, 16, v1
	v_and_or_b32 v9, v1, s11, v0
	v_and_b32_e32 v9, 0xffff, v9
	v_and_or_b32 v0, v5, s6, v4
	v_cmp_ne_u32_e32 vcc, 0, v0
	v_cndmask_b32_e64 v0, 0, 1, vcc
	v_lshrrev_b32_e32 v1, 8, v5
	v_bfe_u32 v4, v5, 20, 11
	v_and_or_b32 v0, v1, s7, v0
	v_sub_u32_e32 v7, 0x3f1, v4
	v_or_b32_e32 v1, 0x1000, v0
	v_med3_i32 v7, v7, 0, 13
	v_lshrrev_b32_e32 v8, v7, v1
	v_lshlrev_b32_e32 v7, v7, v8
	v_cmp_ne_u32_e32 vcc, v7, v1
	v_cndmask_b32_e64 v1, 0, 1, vcc
	v_add_u32_e32 v4, 0xfffffc10, v4
	v_or_b32_e32 v1, v8, v1
	v_lshl_or_b32 v7, v4, 12, v0
	v_cmp_gt_i32_e32 vcc, 1, v4
	v_cndmask_b32_e32 v1, v7, v1, vcc
	v_and_b32_e32 v7, 7, v1
	v_cmp_lt_i32_e32 vcc, 5, v7
	v_cmp_eq_u32_e64 s[0:1], 3, v7
	v_lshrrev_b32_e32 v1, 2, v1
	s_or_b64 vcc, s[0:1], vcc
	v_addc_co_u32_e32 v1, vcc, 0, v1, vcc
	v_cmp_gt_i32_e32 vcc, 31, v4
	v_cndmask_b32_e32 v1, v15, v1, vcc
	v_cmp_ne_u32_e32 vcc, 0, v0
	v_cndmask_b32_e64 v0, 0, 1, vcc
	v_lshl_or_b32 v0, v0, 9, v15
	v_cmp_eq_u32_e32 vcc, s10, v4
	v_mad_u64_u32 v[7:8], s[0:1], s8, v119, 0
	v_cndmask_b32_e32 v10, v1, v0, vcc
	ds_read2_b32 v[0:1], v131 offset0:72 offset1:172
	v_mov_b32_e32 v4, v8
	v_lshrrev_b32_e32 v11, 16, v5
	v_mad_u64_u32 v[4:5], s[0:1], s9, v119, v[4:5]
	s_waitcnt lgkmcnt(0)
	v_lshrrev_b32_e32 v12, 16, v1
	v_mul_f16_sdwa v5, v118, v12 dst_sel:DWORD dst_unused:UNUSED_PAD src0_sel:WORD_1 src1_sel:DWORD
	v_fma_f16 v5, v118, v1, v5
	v_cvt_f32_f16_e32 v5, v5
	v_mov_b32_e32 v8, v4
	v_and_or_b32 v10, v11, s11, v10
	v_lshl_or_b32 v9, v10, 16, v9
	v_cvt_f64_f32_e32 v[4:5], v5
	v_mov_b32_e32 v10, s5
	v_add_co_u32_e32 v11, vcc, s4, v2
	v_mul_f64 v[4:5], v[4:5], s[2:3]
	v_addc_co_u32_e32 v10, vcc, v10, v3, vcc
	v_lshlrev_b64 v[2:3], 2, v[7:8]
	v_mul_f16_sdwa v1, v118, v1 dst_sel:DWORD dst_unused:UNUSED_PAD src0_sel:WORD_1 src1_sel:DWORD
	v_add_co_u32_e32 v2, vcc, v11, v2
	v_addc_co_u32_e32 v3, vcc, v10, v3, vcc
	v_and_or_b32 v4, v5, s6, v4
	v_cmp_ne_u32_e32 vcc, 0, v4
	v_cndmask_b32_e64 v4, 0, 1, vcc
	v_lshrrev_b32_e32 v7, 8, v5
	v_bfe_u32 v8, v5, 20, 11
	global_store_dword v[2:3], v9, off
	v_and_or_b32 v4, v7, s7, v4
	v_sub_u32_e32 v9, 0x3f1, v8
	v_or_b32_e32 v7, 0x1000, v4
	v_med3_i32 v9, v9, 0, 13
	v_lshrrev_b32_e32 v10, v9, v7
	v_lshlrev_b32_e32 v9, v9, v10
	v_cmp_ne_u32_e32 vcc, v9, v7
	v_cndmask_b32_e64 v7, 0, 1, vcc
	v_fma_f16 v1, v118, v12, -v1
	v_or_b32_e32 v7, v10, v7
	v_add_u32_e32 v10, 0xfffffc10, v8
	v_cvt_f32_f16_e32 v1, v1
	v_lshl_or_b32 v8, v10, 12, v4
	v_cmp_gt_i32_e32 vcc, 1, v10
	v_cndmask_b32_e32 v7, v8, v7, vcc
	v_and_b32_e32 v8, 7, v7
	v_cmp_lt_i32_e32 vcc, 5, v8
	v_cmp_eq_u32_e64 s[0:1], 3, v8
	v_lshrrev_b32_e32 v9, 2, v7
	v_cvt_f64_f32_e32 v[7:8], v1
	s_or_b64 vcc, s[0:1], vcc
	v_addc_co_u32_e32 v1, vcc, 0, v9, vcc
	v_mul_f64 v[8:9], v[7:8], s[2:3]
	v_cmp_gt_i32_e32 vcc, 31, v10
	v_cndmask_b32_e32 v1, v15, v1, vcc
	v_cmp_ne_u32_e32 vcc, 0, v4
	v_cndmask_b32_e64 v4, 0, 1, vcc
	v_lshl_or_b32 v4, v4, 9, v15
	v_cmp_eq_u32_e32 vcc, s10, v10
	v_cndmask_b32_e32 v1, v1, v4, vcc
	v_lshrrev_b32_e32 v4, 16, v5
	v_and_or_b32 v1, v4, s11, v1
	v_and_or_b32 v4, v9, s6, v8
	v_cmp_ne_u32_e32 vcc, 0, v4
	v_cndmask_b32_e64 v4, 0, 1, vcc
	v_lshrrev_b32_e32 v5, 8, v9
	v_bfe_u32 v7, v9, 20, 11
	v_and_or_b32 v4, v5, s7, v4
	v_sub_u32_e32 v8, 0x3f1, v7
	v_or_b32_e32 v5, 0x1000, v4
	v_med3_i32 v8, v8, 0, 13
	v_lshrrev_b32_e32 v10, v8, v5
	v_lshlrev_b32_e32 v8, v8, v10
	v_cmp_ne_u32_e32 vcc, v8, v5
	v_cndmask_b32_e64 v5, 0, 1, vcc
	v_or_b32_e32 v5, v10, v5
	v_add_u32_e32 v10, 0xfffffc10, v7
	v_lshl_or_b32 v7, v10, 12, v4
	v_cmp_gt_i32_e32 vcc, 1, v10
	v_cndmask_b32_e32 v5, v7, v5, vcc
	v_and_b32_e32 v7, 7, v5
	v_cmp_lt_i32_e32 vcc, 5, v7
	v_cmp_eq_u32_e64 s[0:1], 3, v7
	v_lshrrev_b32_e32 v5, 2, v5
	s_or_b64 vcc, s[0:1], vcc
	ds_read2_b32 v[7:8], v128 offset0:88 offset1:188
	v_addc_co_u32_e32 v5, vcc, 0, v5, vcc
	v_cmp_gt_i32_e32 vcc, 31, v10
	v_cndmask_b32_e32 v5, v15, v5, vcc
	v_cmp_ne_u32_e32 vcc, 0, v4
	v_cndmask_b32_e64 v4, 0, 1, vcc
	v_lshl_or_b32 v4, v4, 9, v15
	v_cmp_eq_u32_e32 vcc, s10, v10
	s_waitcnt lgkmcnt(0)
	v_lshrrev_b32_e32 v11, 16, v7
	v_cndmask_b32_e32 v4, v5, v4, vcc
	v_lshrrev_b32_e32 v5, 16, v9
	v_mul_f16_sdwa v9, v116, v11 dst_sel:DWORD dst_unused:UNUSED_PAD src0_sel:WORD_1 src1_sel:DWORD
	v_fma_f16 v9, v116, v7, v9
	v_cvt_f32_f16_e32 v9, v9
	v_and_or_b32 v4, v5, s11, v4
	v_and_b32_e32 v1, 0xffff, v1
	v_lshl_or_b32 v1, v4, 16, v1
	v_cvt_f64_f32_e32 v[4:5], v9
	s_mul_i32 s0, s9, 0x4b0
	s_mul_hi_u32 s4, s8, 0x4b0
	s_add_i32 s4, s4, s0
	v_mul_f64 v[4:5], v[4:5], s[2:3]
	s_mul_i32 s5, s8, 0x4b0
	v_mov_b32_e32 v10, s4
	v_add_co_u32_e32 v9, vcc, s5, v2
	v_addc_co_u32_e32 v10, vcc, v3, v10, vcc
	global_store_dword v[9:10], v1, off
	v_and_or_b32 v1, v5, s6, v4
	v_cmp_ne_u32_e32 vcc, 0, v1
	v_cndmask_b32_e64 v1, 0, 1, vcc
	v_lshrrev_b32_e32 v2, 8, v5
	v_and_or_b32 v4, v2, s7, v1
	v_bfe_u32 v2, v5, 20, 11
	v_sub_u32_e32 v3, 0x3f1, v2
	v_or_b32_e32 v1, 0x1000, v4
	v_med3_i32 v3, v3, 0, 13
	v_lshrrev_b32_e32 v12, v3, v1
	v_lshlrev_b32_e32 v3, v3, v12
	v_cmp_ne_u32_e32 vcc, v3, v1
	v_mul_f16_sdwa v3, v116, v7 dst_sel:DWORD dst_unused:UNUSED_PAD src0_sel:WORD_1 src1_sel:DWORD
	v_cndmask_b32_e64 v1, 0, 1, vcc
	v_fma_f16 v3, v116, v11, -v3
	v_or_b32_e32 v1, v12, v1
	v_add_u32_e32 v12, 0xfffffc10, v2
	v_cvt_f32_f16_e32 v3, v3
	v_lshl_or_b32 v2, v12, 12, v4
	v_cmp_gt_i32_e32 vcc, 1, v12
	v_cndmask_b32_e32 v1, v2, v1, vcc
	v_and_b32_e32 v2, 7, v1
	v_cmp_lt_i32_e32 vcc, 5, v2
	v_cmp_eq_u32_e64 s[0:1], 3, v2
	v_lshrrev_b32_e32 v7, 2, v1
	v_cvt_f64_f32_e32 v[1:2], v3
	s_or_b64 vcc, s[0:1], vcc
	v_addc_co_u32_e32 v3, vcc, 0, v7, vcc
	v_cmp_gt_i32_e32 vcc, 31, v12
	v_cndmask_b32_e32 v7, v15, v3, vcc
	v_mul_f64 v[2:3], v[1:2], s[2:3]
	v_cmp_ne_u32_e32 vcc, 0, v4
	v_cndmask_b32_e64 v1, 0, 1, vcc
	v_lshl_or_b32 v1, v1, 9, v15
	v_cmp_eq_u32_e32 vcc, s10, v12
	v_cndmask_b32_e32 v1, v7, v1, vcc
	v_lshrrev_b32_e32 v4, 16, v5
	v_and_or_b32 v7, v4, s11, v1
	v_and_or_b32 v1, v3, s6, v2
	v_cmp_ne_u32_e32 vcc, 0, v1
	v_cndmask_b32_e64 v1, 0, 1, vcc
	v_lshrrev_b32_e32 v2, 8, v3
	v_and_or_b32 v4, v2, s7, v1
	v_bfe_u32 v2, v3, 20, 11
	v_sub_u32_e32 v5, 0x3f1, v2
	v_or_b32_e32 v1, 0x1000, v4
	v_med3_i32 v5, v5, 0, 13
	v_lshrrev_b32_e32 v11, v5, v1
	v_lshlrev_b32_e32 v5, v5, v11
	v_cmp_ne_u32_e32 vcc, v5, v1
	v_cndmask_b32_e64 v1, 0, 1, vcc
	v_add_u32_e32 v5, 0xfffffc10, v2
	v_or_b32_e32 v1, v11, v1
	v_lshl_or_b32 v2, v5, 12, v4
	v_cmp_gt_i32_e32 vcc, 1, v5
	v_cndmask_b32_e32 v1, v2, v1, vcc
	v_and_b32_e32 v2, 7, v1
	v_cmp_lt_i32_e32 vcc, 5, v2
	v_cmp_eq_u32_e64 s[0:1], 3, v2
	v_lshrrev_b32_e32 v1, 2, v1
	s_or_b64 vcc, s[0:1], vcc
	v_addc_co_u32_e32 v11, vcc, 0, v1, vcc
	ds_read2_b32 v[1:2], v127 offset0:32 offset1:132
	v_cmp_gt_i32_e32 vcc, 31, v5
	v_cndmask_b32_e32 v11, v15, v11, vcc
	v_cmp_ne_u32_e32 vcc, 0, v4
	v_cndmask_b32_e64 v4, 0, 1, vcc
	s_waitcnt lgkmcnt(0)
	v_lshrrev_b32_e32 v13, 16, v2
	v_mul_f16_sdwa v12, v115, v13 dst_sel:DWORD dst_unused:UNUSED_PAD src0_sel:WORD_1 src1_sel:DWORD
	v_fma_f16 v12, v115, v2, v12
	v_cvt_f32_f16_e32 v12, v12
	v_lshl_or_b32 v4, v4, 9, v15
	v_cmp_eq_u32_e32 vcc, s10, v5
	v_cndmask_b32_e32 v11, v11, v4, vcc
	v_cvt_f64_f32_e32 v[4:5], v12
	v_lshrrev_b32_e32 v3, 16, v3
	v_and_or_b32 v11, v3, s11, v11
	v_and_b32_e32 v7, 0xffff, v7
	v_mul_f64 v[3:4], v[4:5], s[2:3]
	v_lshl_or_b32 v5, v11, 16, v7
	v_mov_b32_e32 v7, s4
	v_add_co_u32_e32 v11, vcc, s5, v9
	v_addc_co_u32_e32 v12, vcc, v10, v7, vcc
	global_store_dword v[11:12], v5, off
	v_and_or_b32 v3, v4, s6, v3
	v_cmp_ne_u32_e32 vcc, 0, v3
	v_cndmask_b32_e64 v3, 0, 1, vcc
	v_lshrrev_b32_e32 v5, 8, v4
	v_bfe_u32 v7, v4, 20, 11
	v_and_or_b32 v5, v5, s7, v3
	v_sub_u32_e32 v9, 0x3f1, v7
	v_or_b32_e32 v3, 0x1000, v5
	v_med3_i32 v9, v9, 0, 13
	v_lshrrev_b32_e32 v10, v9, v3
	v_lshlrev_b32_e32 v9, v9, v10
	v_mul_f16_sdwa v2, v115, v2 dst_sel:DWORD dst_unused:UNUSED_PAD src0_sel:WORD_1 src1_sel:DWORD
	v_cmp_ne_u32_e32 vcc, v9, v3
	v_fma_f16 v2, v115, v13, -v2
	v_cndmask_b32_e64 v3, 0, 1, vcc
	v_add_u32_e32 v7, 0xfffffc10, v7
	v_cvt_f32_f16_e32 v2, v2
	v_or_b32_e32 v3, v10, v3
	v_lshl_or_b32 v9, v7, 12, v5
	v_cmp_gt_i32_e32 vcc, 1, v7
	v_cndmask_b32_e32 v3, v9, v3, vcc
	v_and_b32_e32 v9, 7, v3
	v_cmp_lt_i32_e32 vcc, 5, v9
	v_cmp_eq_u32_e64 s[0:1], 3, v9
	v_lshrrev_b32_e32 v9, 2, v3
	v_cvt_f64_f32_e32 v[2:3], v2
	s_or_b64 vcc, s[0:1], vcc
	v_addc_co_u32_e32 v9, vcc, 0, v9, vcc
	v_mul_f64 v[2:3], v[2:3], s[2:3]
	v_cmp_gt_i32_e32 vcc, 31, v7
	v_cndmask_b32_e32 v9, v15, v9, vcc
	v_cmp_ne_u32_e32 vcc, 0, v5
	v_cndmask_b32_e64 v5, 0, 1, vcc
	v_lshl_or_b32 v5, v5, 9, v15
	v_cmp_eq_u32_e32 vcc, s10, v7
	v_cndmask_b32_e32 v5, v9, v5, vcc
	v_and_or_b32 v2, v3, s6, v2
	v_lshrrev_b32_e32 v4, 16, v4
	v_cmp_ne_u32_e32 vcc, 0, v2
	v_and_or_b32 v7, v4, s11, v5
	v_cndmask_b32_e64 v2, 0, 1, vcc
	v_lshrrev_b32_e32 v4, 8, v3
	v_bfe_u32 v5, v3, 20, 11
	v_and_or_b32 v2, v4, s7, v2
	v_sub_u32_e32 v9, 0x3f1, v5
	v_or_b32_e32 v4, 0x1000, v2
	v_med3_i32 v9, v9, 0, 13
	v_lshrrev_b32_e32 v10, v9, v4
	v_lshlrev_b32_e32 v9, v9, v10
	v_cmp_ne_u32_e32 vcc, v9, v4
	v_cndmask_b32_e64 v4, 0, 1, vcc
	v_add_u32_e32 v5, 0xfffffc10, v5
	v_or_b32_e32 v4, v10, v4
	v_lshl_or_b32 v9, v5, 12, v2
	v_cmp_gt_i32_e32 vcc, 1, v5
	v_cndmask_b32_e32 v4, v9, v4, vcc
	v_and_b32_e32 v9, 7, v4
	v_cmp_lt_i32_e32 vcc, 5, v9
	v_cmp_eq_u32_e64 s[0:1], 3, v9
	ds_read2_b32 v[9:10], v126 offset0:48 offset1:148
	v_lshrrev_b32_e32 v4, 2, v4
	s_or_b64 vcc, s[0:1], vcc
	v_addc_co_u32_e32 v4, vcc, 0, v4, vcc
	s_waitcnt lgkmcnt(0)
	v_lshrrev_b32_e32 v13, 16, v9
	v_mul_f16_sdwa v14, v112, v13 dst_sel:DWORD dst_unused:UNUSED_PAD src0_sel:WORD_1 src1_sel:DWORD
	v_fma_f16 v14, v112, v9, v14
	v_cmp_gt_i32_e32 vcc, 31, v5
	v_cvt_f32_f16_e32 v14, v14
	v_cndmask_b32_e32 v4, v15, v4, vcc
	v_cmp_ne_u32_e32 vcc, 0, v2
	v_cndmask_b32_e64 v2, 0, 1, vcc
	v_lshl_or_b32 v2, v2, 9, v15
	v_cmp_eq_u32_e32 vcc, s10, v5
	v_cndmask_b32_e32 v2, v4, v2, vcc
	v_cvt_f64_f32_e32 v[4:5], v14
	v_lshrrev_b32_e32 v3, 16, v3
	v_and_or_b32 v14, v3, s11, v2
	v_and_b32_e32 v7, 0xffff, v7
	v_mul_f64 v[2:3], v[4:5], s[2:3]
	v_mov_b32_e32 v5, s4
	v_add_co_u32_e32 v4, vcc, s5, v11
	v_addc_co_u32_e32 v5, vcc, v12, v5, vcc
	v_lshl_or_b32 v7, v14, 16, v7
	global_store_dword v[4:5], v7, off
	v_and_or_b32 v2, v3, s6, v2
	v_cmp_ne_u32_e32 vcc, 0, v2
	v_cndmask_b32_e64 v2, 0, 1, vcc
	v_lshrrev_b32_e32 v7, 8, v3
	v_bfe_u32 v11, v3, 20, 11
	v_and_or_b32 v2, v7, s7, v2
	v_sub_u32_e32 v12, 0x3f1, v11
	v_or_b32_e32 v7, 0x1000, v2
	v_med3_i32 v12, v12, 0, 13
	v_lshrrev_b32_e32 v14, v12, v7
	v_lshlrev_b32_e32 v12, v12, v14
	v_cmp_ne_u32_e32 vcc, v12, v7
	v_mul_f16_sdwa v9, v112, v9 dst_sel:DWORD dst_unused:UNUSED_PAD src0_sel:WORD_1 src1_sel:DWORD
	v_cndmask_b32_e64 v7, 0, 1, vcc
	v_fma_f16 v9, v112, v13, -v9
	v_or_b32_e32 v7, v14, v7
	v_add_u32_e32 v14, 0xfffffc10, v11
	v_cvt_f32_f16_e32 v9, v9
	v_lshl_or_b32 v11, v14, 12, v2
	v_cmp_gt_i32_e32 vcc, 1, v14
	v_cndmask_b32_e32 v7, v11, v7, vcc
	v_and_b32_e32 v11, 7, v7
	v_cmp_lt_i32_e32 vcc, 5, v11
	v_cmp_eq_u32_e64 s[0:1], 3, v11
	v_cvt_f64_f32_e32 v[11:12], v9
	v_lshrrev_b32_e32 v7, 2, v7
	s_or_b64 vcc, s[0:1], vcc
	v_addc_co_u32_e32 v7, vcc, 0, v7, vcc
	v_mul_f64 v[11:12], v[11:12], s[2:3]
	v_cmp_gt_i32_e32 vcc, 31, v14
	v_cndmask_b32_e32 v7, v15, v7, vcc
	v_cmp_ne_u32_e32 vcc, 0, v2
	v_cndmask_b32_e64 v2, 0, 1, vcc
	v_lshl_or_b32 v2, v2, 9, v15
	v_cmp_eq_u32_e32 vcc, s10, v14
	v_cndmask_b32_e32 v2, v7, v2, vcc
	v_lshrrev_b32_e32 v3, 16, v3
	v_and_or_b32 v7, v3, s11, v2
	v_and_or_b32 v2, v12, s6, v11
	v_cmp_ne_u32_e32 vcc, 0, v2
	v_cndmask_b32_e64 v2, 0, 1, vcc
	v_lshrrev_b32_e32 v3, 8, v12
	v_and_or_b32 v9, v3, s7, v2
	v_bfe_u32 v3, v12, 20, 11
	v_sub_u32_e32 v11, 0x3f1, v3
	v_or_b32_e32 v2, 0x1000, v9
	v_med3_i32 v11, v11, 0, 13
	v_lshrrev_b32_e32 v13, v11, v2
	v_lshlrev_b32_e32 v11, v11, v13
	v_cmp_ne_u32_e32 vcc, v11, v2
	v_cndmask_b32_e64 v2, 0, 1, vcc
	v_add_u32_e32 v11, 0xfffffc10, v3
	v_or_b32_e32 v2, v13, v2
	v_lshl_or_b32 v3, v11, 12, v9
	v_cmp_gt_i32_e32 vcc, 1, v11
	v_cndmask_b32_e32 v2, v3, v2, vcc
	v_and_b32_e32 v3, 7, v2
	v_cmp_lt_i32_e32 vcc, 5, v3
	v_cmp_eq_u32_e64 s[0:1], 3, v3
	v_lshrrev_b32_e32 v2, 2, v2
	s_or_b64 vcc, s[0:1], vcc
	v_addc_co_u32_e32 v13, vcc, 0, v2, vcc
	ds_read2_b32 v[2:3], v125 offset0:120 offset1:220
	v_cmp_gt_i32_e32 vcc, 31, v11
	v_cndmask_b32_e32 v13, v15, v13, vcc
	v_cmp_ne_u32_e32 vcc, 0, v9
	v_cndmask_b32_e64 v9, 0, 1, vcc
	s_waitcnt lgkmcnt(0)
	v_lshrrev_b32_e32 v16, 16, v3
	v_mul_f16_sdwa v14, v111, v16 dst_sel:DWORD dst_unused:UNUSED_PAD src0_sel:WORD_1 src1_sel:DWORD
	v_fma_f16 v14, v111, v3, v14
	v_cvt_f32_f16_e32 v14, v14
	v_lshl_or_b32 v9, v9, 9, v15
	v_cmp_eq_u32_e32 vcc, s10, v11
	v_cndmask_b32_e32 v9, v13, v9, vcc
	v_cvt_f64_f32_e32 v[13:14], v14
	v_lshrrev_b32_e32 v11, 16, v12
	v_and_or_b32 v9, v11, s11, v9
	v_and_b32_e32 v7, 0xffff, v7
	v_mul_f64 v[11:12], v[13:14], s[2:3]
	v_lshl_or_b32 v7, v9, 16, v7
	v_mov_b32_e32 v9, s4
	v_add_co_u32_e32 v4, vcc, s5, v4
	v_addc_co_u32_e32 v5, vcc, v5, v9, vcc
	global_store_dword v[4:5], v7, off
	v_and_or_b32 v7, v12, s6, v11
	v_cmp_ne_u32_e32 vcc, 0, v7
	v_cndmask_b32_e64 v7, 0, 1, vcc
	v_lshrrev_b32_e32 v9, 8, v12
	v_bfe_u32 v11, v12, 20, 11
	v_and_or_b32 v7, v9, s7, v7
	v_sub_u32_e32 v13, 0x3f1, v11
	v_or_b32_e32 v9, 0x1000, v7
	v_med3_i32 v13, v13, 0, 13
	v_lshrrev_b32_e32 v14, v13, v9
	v_lshlrev_b32_e32 v13, v13, v14
	v_mul_f16_sdwa v3, v111, v3 dst_sel:DWORD dst_unused:UNUSED_PAD src0_sel:WORD_1 src1_sel:DWORD
	v_cmp_ne_u32_e32 vcc, v13, v9
	v_fma_f16 v3, v111, v16, -v3
	v_cndmask_b32_e64 v9, 0, 1, vcc
	v_add_u32_e32 v11, 0xfffffc10, v11
	v_cvt_f32_f16_e32 v3, v3
	v_or_b32_e32 v9, v14, v9
	v_lshl_or_b32 v13, v11, 12, v7
	v_cmp_gt_i32_e32 vcc, 1, v11
	v_cndmask_b32_e32 v9, v13, v9, vcc
	v_and_b32_e32 v13, 7, v9
	v_cmp_lt_i32_e32 vcc, 5, v13
	v_cmp_eq_u32_e64 s[0:1], 3, v13
	v_cvt_f64_f32_e32 v[13:14], v3
	v_lshrrev_b32_e32 v9, 2, v9
	s_or_b64 vcc, s[0:1], vcc
	v_addc_co_u32_e32 v3, vcc, 0, v9, vcc
	v_mul_f64 v[13:14], v[13:14], s[2:3]
	v_cmp_gt_i32_e32 vcc, 31, v11
	v_cndmask_b32_e32 v3, v15, v3, vcc
	v_cmp_ne_u32_e32 vcc, 0, v7
	v_cndmask_b32_e64 v7, 0, 1, vcc
	v_lshl_or_b32 v7, v7, 9, v15
	v_cmp_eq_u32_e32 vcc, s10, v11
	v_cndmask_b32_e32 v3, v3, v7, vcc
	v_lshrrev_b32_e32 v7, 16, v12
	v_and_or_b32 v3, v7, s11, v3
	v_and_or_b32 v7, v14, s6, v13
	v_cmp_ne_u32_e32 vcc, 0, v7
	v_cndmask_b32_e64 v7, 0, 1, vcc
	v_lshrrev_b32_e32 v9, 8, v14
	v_bfe_u32 v11, v14, 20, 11
	v_and_or_b32 v7, v9, s7, v7
	v_sub_u32_e32 v12, 0x3f1, v11
	v_or_b32_e32 v9, 0x1000, v7
	v_med3_i32 v12, v12, 0, 13
	v_lshrrev_b32_e32 v13, v12, v9
	v_lshlrev_b32_e32 v12, v12, v13
	v_cmp_ne_u32_e32 vcc, v12, v9
	v_cndmask_b32_e64 v9, 0, 1, vcc
	v_or_b32_e32 v9, v13, v9
	v_add_u32_e32 v13, 0xfffffc10, v11
	v_lshl_or_b32 v11, v13, 12, v7
	v_cmp_gt_i32_e32 vcc, 1, v13
	v_cndmask_b32_e32 v9, v11, v9, vcc
	v_and_b32_e32 v11, 7, v9
	v_cmp_lt_i32_e32 vcc, 5, v11
	v_cmp_eq_u32_e64 s[0:1], 3, v11
	ds_read2_b32 v[11:12], v124 offset0:8 offset1:108
	v_lshrrev_b32_e32 v9, 2, v9
	s_or_b64 vcc, s[0:1], vcc
	v_addc_co_u32_e32 v9, vcc, 0, v9, vcc
	s_waitcnt lgkmcnt(0)
	v_lshrrev_b32_e32 v18, 16, v11
	v_mul_f16_sdwa v16, v113, v18 dst_sel:DWORD dst_unused:UNUSED_PAD src0_sel:WORD_1 src1_sel:DWORD
	v_fma_f16 v16, v113, v11, v16
	v_cvt_f32_f16_e32 v16, v16
	v_cmp_gt_i32_e32 vcc, 31, v13
	v_cndmask_b32_e32 v9, v15, v9, vcc
	v_cmp_ne_u32_e32 vcc, 0, v7
	v_cvt_f64_f32_e32 v[16:17], v16
	v_cndmask_b32_e64 v7, 0, 1, vcc
	v_lshl_or_b32 v7, v7, 9, v15
	v_cmp_eq_u32_e32 vcc, s10, v13
	v_cndmask_b32_e32 v7, v9, v7, vcc
	v_lshrrev_b32_e32 v9, 16, v14
	v_mul_f64 v[13:14], v[16:17], s[2:3]
	v_and_or_b32 v7, v9, s11, v7
	v_and_b32_e32 v3, 0xffff, v3
	v_lshl_or_b32 v3, v7, 16, v3
	v_mov_b32_e32 v7, s4
	v_add_co_u32_e32 v16, vcc, s5, v4
	v_addc_co_u32_e32 v17, vcc, v5, v7, vcc
	global_store_dword v[16:17], v3, off
	v_and_or_b32 v3, v14, s6, v13
	v_cmp_ne_u32_e32 vcc, 0, v3
	v_cndmask_b32_e64 v3, 0, 1, vcc
	v_lshrrev_b32_e32 v4, 8, v14
	v_and_or_b32 v7, v4, s7, v3
	v_bfe_u32 v4, v14, 20, 11
	v_sub_u32_e32 v5, 0x3f1, v4
	v_or_b32_e32 v3, 0x1000, v7
	v_med3_i32 v5, v5, 0, 13
	v_lshrrev_b32_e32 v9, v5, v3
	v_lshlrev_b32_e32 v5, v5, v9
	v_cmp_ne_u32_e32 vcc, v5, v3
	v_mul_f16_sdwa v5, v113, v11 dst_sel:DWORD dst_unused:UNUSED_PAD src0_sel:WORD_1 src1_sel:DWORD
	v_cndmask_b32_e64 v3, 0, 1, vcc
	v_fma_f16 v5, v113, v18, -v5
	v_or_b32_e32 v3, v9, v3
	v_add_u32_e32 v9, 0xfffffc10, v4
	v_cvt_f32_f16_e32 v5, v5
	v_lshl_or_b32 v4, v9, 12, v7
	v_cmp_gt_i32_e32 vcc, 1, v9
	v_cndmask_b32_e32 v3, v4, v3, vcc
	v_and_b32_e32 v4, 7, v3
	v_cmp_lt_i32_e32 vcc, 5, v4
	v_cmp_eq_u32_e64 s[0:1], 3, v4
	v_lshrrev_b32_e32 v11, 2, v3
	v_cvt_f64_f32_e32 v[3:4], v5
	s_or_b64 vcc, s[0:1], vcc
	v_addc_co_u32_e32 v5, vcc, 0, v11, vcc
	v_cmp_gt_i32_e32 vcc, 31, v9
	v_cndmask_b32_e32 v11, v15, v5, vcc
	v_mul_f64 v[4:5], v[3:4], s[2:3]
	v_cmp_ne_u32_e32 vcc, 0, v7
	v_cndmask_b32_e64 v3, 0, 1, vcc
	v_lshl_or_b32 v3, v3, 9, v15
	v_cmp_eq_u32_e32 vcc, s10, v9
	v_cndmask_b32_e32 v3, v11, v3, vcc
	v_lshrrev_b32_e32 v7, 16, v14
	v_and_or_b32 v7, v7, s11, v3
	v_and_or_b32 v3, v5, s6, v4
	v_cmp_ne_u32_e32 vcc, 0, v3
	v_cndmask_b32_e64 v3, 0, 1, vcc
	v_lshrrev_b32_e32 v4, 8, v5
	v_and_or_b32 v9, v4, s7, v3
	v_bfe_u32 v4, v5, 20, 11
	v_sub_u32_e32 v11, 0x3f1, v4
	v_or_b32_e32 v3, 0x1000, v9
	v_med3_i32 v11, v11, 0, 13
	v_lshrrev_b32_e32 v13, v11, v3
	v_lshlrev_b32_e32 v11, v11, v13
	v_cmp_ne_u32_e32 vcc, v11, v3
	v_cndmask_b32_e64 v3, 0, 1, vcc
	v_add_u32_e32 v11, 0xfffffc10, v4
	v_or_b32_e32 v3, v13, v3
	v_lshl_or_b32 v4, v11, 12, v9
	v_cmp_gt_i32_e32 vcc, 1, v11
	v_cndmask_b32_e32 v3, v4, v3, vcc
	v_and_b32_e32 v4, 7, v3
	v_cmp_lt_i32_e32 vcc, 5, v4
	v_cmp_eq_u32_e64 s[0:1], 3, v4
	v_lshrrev_b32_e32 v3, 2, v3
	s_or_b64 vcc, s[0:1], vcc
	v_addc_co_u32_e32 v13, vcc, 0, v3, vcc
	ds_read2_b32 v[3:4], v122 offset0:80 offset1:180
	v_cmp_gt_i32_e32 vcc, 31, v11
	v_cndmask_b32_e32 v13, v15, v13, vcc
	v_cmp_ne_u32_e32 vcc, 0, v9
	v_cndmask_b32_e64 v9, 0, 1, vcc
	s_waitcnt lgkmcnt(0)
	v_lshrrev_b32_e32 v18, 16, v4
	v_mul_f16_sdwa v14, v114, v18 dst_sel:DWORD dst_unused:UNUSED_PAD src0_sel:WORD_1 src1_sel:DWORD
	v_fma_f16 v14, v114, v4, v14
	v_cvt_f32_f16_e32 v14, v14
	v_lshl_or_b32 v9, v9, 9, v15
	v_cmp_eq_u32_e32 vcc, s10, v11
	v_cndmask_b32_e32 v9, v13, v9, vcc
	v_cvt_f64_f32_e32 v[13:14], v14
	v_lshrrev_b32_e32 v5, 16, v5
	v_and_or_b32 v5, v5, s11, v9
	v_and_b32_e32 v7, 0xffff, v7
	v_mul_f64 v[13:14], v[13:14], s[2:3]
	v_lshl_or_b32 v5, v5, 16, v7
	v_mov_b32_e32 v7, s4
	v_add_co_u32_e32 v16, vcc, s5, v16
	v_addc_co_u32_e32 v17, vcc, v17, v7, vcc
	global_store_dword v[16:17], v5, off
	v_and_or_b32 v5, v14, s6, v13
	v_cmp_ne_u32_e32 vcc, 0, v5
	v_cndmask_b32_e64 v5, 0, 1, vcc
	v_lshrrev_b32_e32 v7, 8, v14
	v_bfe_u32 v9, v14, 20, 11
	v_and_or_b32 v7, v7, s7, v5
	v_sub_u32_e32 v11, 0x3f1, v9
	v_or_b32_e32 v5, 0x1000, v7
	v_med3_i32 v11, v11, 0, 13
	v_lshrrev_b32_e32 v13, v11, v5
	v_lshlrev_b32_e32 v11, v11, v13
	v_mul_f16_sdwa v4, v114, v4 dst_sel:DWORD dst_unused:UNUSED_PAD src0_sel:WORD_1 src1_sel:DWORD
	v_cmp_ne_u32_e32 vcc, v11, v5
	v_fma_f16 v4, v114, v18, -v4
	v_cndmask_b32_e64 v5, 0, 1, vcc
	v_add_u32_e32 v9, 0xfffffc10, v9
	v_cvt_f32_f16_e32 v4, v4
	v_or_b32_e32 v5, v13, v5
	v_lshl_or_b32 v11, v9, 12, v7
	v_cmp_gt_i32_e32 vcc, 1, v9
	v_cndmask_b32_e32 v5, v11, v5, vcc
	v_and_b32_e32 v11, 7, v5
	v_cmp_lt_i32_e32 vcc, 5, v11
	v_cmp_eq_u32_e64 s[0:1], 3, v11
	v_lshrrev_b32_e32 v11, 2, v5
	v_cvt_f64_f32_e32 v[4:5], v4
	s_or_b64 vcc, s[0:1], vcc
	v_addc_co_u32_e32 v11, vcc, 0, v11, vcc
	v_mul_f64 v[4:5], v[4:5], s[2:3]
	v_cmp_gt_i32_e32 vcc, 31, v9
	v_cndmask_b32_e32 v11, v15, v11, vcc
	v_cmp_ne_u32_e32 vcc, 0, v7
	v_cndmask_b32_e64 v7, 0, 1, vcc
	v_lshl_or_b32 v7, v7, 9, v15
	v_cmp_eq_u32_e32 vcc, s10, v9
	v_cndmask_b32_e32 v7, v11, v7, vcc
	v_and_or_b32 v4, v5, s6, v4
	v_lshrrev_b32_e32 v9, 16, v14
	v_cmp_ne_u32_e32 vcc, 0, v4
	v_and_or_b32 v7, v9, s11, v7
	v_cndmask_b32_e64 v4, 0, 1, vcc
	v_lshrrev_b32_e32 v9, 8, v5
	v_bfe_u32 v11, v5, 20, 11
	v_and_or_b32 v4, v9, s7, v4
	v_sub_u32_e32 v13, 0x3f1, v11
	v_or_b32_e32 v9, 0x1000, v4
	v_med3_i32 v13, v13, 0, 13
	v_lshrrev_b32_e32 v14, v13, v9
	v_lshlrev_b32_e32 v13, v13, v14
	v_cmp_ne_u32_e32 vcc, v13, v9
	v_cndmask_b32_e64 v9, 0, 1, vcc
	v_add_u32_e32 v11, 0xfffffc10, v11
	v_or_b32_e32 v9, v14, v9
	v_lshl_or_b32 v13, v11, 12, v4
	v_cmp_gt_i32_e32 vcc, 1, v11
	v_cndmask_b32_e32 v9, v13, v9, vcc
	v_and_b32_e32 v13, 7, v9
	v_cmp_lt_i32_e32 vcc, 5, v13
	v_cmp_eq_u32_e64 s[0:1], 3, v13
	ds_read2_b32 v[13:14], v120 offset0:96 offset1:196
	v_lshrrev_b32_e32 v9, 2, v9
	s_or_b64 vcc, s[0:1], vcc
	v_addc_co_u32_e32 v9, vcc, 0, v9, vcc
	s_waitcnt lgkmcnt(0)
	v_lshrrev_b32_e32 v20, 16, v13
	v_mul_f16_sdwa v18, v110, v20 dst_sel:DWORD dst_unused:UNUSED_PAD src0_sel:WORD_1 src1_sel:DWORD
	v_fma_f16 v18, v110, v13, v18
	v_cvt_f32_f16_e32 v18, v18
	v_cmp_gt_i32_e32 vcc, 31, v11
	v_cndmask_b32_e32 v9, v15, v9, vcc
	v_cmp_ne_u32_e32 vcc, 0, v4
	v_cvt_f64_f32_e32 v[18:19], v18
	v_cndmask_b32_e64 v4, 0, 1, vcc
	v_lshl_or_b32 v4, v4, 9, v15
	v_cmp_eq_u32_e32 vcc, s10, v11
	v_cndmask_b32_e32 v4, v9, v4, vcc
	v_lshrrev_b32_e32 v5, 16, v5
	v_and_or_b32 v9, v5, s11, v4
	v_mul_f64 v[4:5], v[18:19], s[2:3]
	v_and_b32_e32 v7, 0xffff, v7
	v_lshl_or_b32 v7, v9, 16, v7
	v_mov_b32_e32 v9, s4
	v_add_co_u32_e32 v16, vcc, s5, v16
	v_addc_co_u32_e32 v17, vcc, v17, v9, vcc
	v_and_or_b32 v4, v5, s6, v4
	v_cmp_ne_u32_e32 vcc, 0, v4
	global_store_dword v[16:17], v7, off
	v_cndmask_b32_e64 v4, 0, 1, vcc
	v_lshrrev_b32_e32 v7, 8, v5
	v_bfe_u32 v9, v5, 20, 11
	v_and_or_b32 v4, v7, s7, v4
	v_sub_u32_e32 v11, 0x3f1, v9
	v_mul_f16_sdwa v13, v110, v13 dst_sel:DWORD dst_unused:UNUSED_PAD src0_sel:WORD_1 src1_sel:DWORD
	v_or_b32_e32 v7, 0x1000, v4
	v_med3_i32 v11, v11, 0, 13
	v_fma_f16 v13, v110, v20, -v13
	v_lshrrev_b32_e32 v18, v11, v7
	v_cvt_f32_f16_e32 v13, v13
	v_lshlrev_b32_e32 v11, v11, v18
	v_cmp_ne_u32_e32 vcc, v11, v7
	v_cndmask_b32_e64 v7, 0, 1, vcc
	v_or_b32_e32 v7, v18, v7
	v_add_u32_e32 v9, 0xfffffc10, v9
	v_cvt_f64_f32_e32 v[18:19], v13
	v_lshl_or_b32 v11, v9, 12, v4
	v_cmp_gt_i32_e32 vcc, 1, v9
	v_cndmask_b32_e32 v7, v11, v7, vcc
	v_and_b32_e32 v11, 7, v7
	v_cmp_lt_i32_e32 vcc, 5, v11
	v_cmp_eq_u32_e64 s[0:1], 3, v11
	v_mul_f64 v[18:19], v[18:19], s[2:3]
	v_lshrrev_b32_e32 v7, 2, v7
	s_or_b64 vcc, s[0:1], vcc
	v_addc_co_u32_e32 v7, vcc, 0, v7, vcc
	v_cmp_gt_i32_e32 vcc, 31, v9
	v_cndmask_b32_e32 v7, v15, v7, vcc
	v_cmp_ne_u32_e32 vcc, 0, v4
	v_cndmask_b32_e64 v4, 0, 1, vcc
	v_lshl_or_b32 v4, v4, 9, v15
	v_cmp_eq_u32_e32 vcc, s10, v9
	v_cndmask_b32_e32 v4, v7, v4, vcc
	v_lshrrev_b32_e32 v5, 16, v5
	v_and_or_b32 v7, v5, s11, v4
	v_and_or_b32 v4, v19, s6, v18
	v_cmp_ne_u32_e32 vcc, 0, v4
	v_cndmask_b32_e64 v4, 0, 1, vcc
	v_lshrrev_b32_e32 v5, 8, v19
	v_and_or_b32 v9, v5, s7, v4
	v_bfe_u32 v5, v19, 20, 11
	v_sub_u32_e32 v11, 0x3f1, v5
	v_or_b32_e32 v4, 0x1000, v9
	v_med3_i32 v11, v11, 0, 13
	v_lshrrev_b32_e32 v13, v11, v4
	v_lshlrev_b32_e32 v11, v11, v13
	v_cmp_ne_u32_e32 vcc, v11, v4
	v_cndmask_b32_e64 v4, 0, 1, vcc
	v_add_u32_e32 v11, 0xfffffc10, v5
	v_or_b32_e32 v4, v13, v4
	v_lshl_or_b32 v5, v11, 12, v9
	v_cmp_gt_i32_e32 vcc, 1, v11
	v_cndmask_b32_e32 v4, v5, v4, vcc
	v_and_b32_e32 v5, 7, v4
	v_cmp_lt_i32_e32 vcc, 5, v5
	v_cmp_eq_u32_e64 s[0:1], 3, v5
	v_lshrrev_b32_e32 v4, 2, v4
	s_or_b64 vcc, s[0:1], vcc
	v_addc_co_u32_e32 v13, vcc, 0, v4, vcc
	ds_read2_b32 v[4:5], v117 offset0:40 offset1:140
	v_cmp_gt_i32_e32 vcc, 31, v11
	v_cndmask_b32_e32 v13, v15, v13, vcc
	v_cmp_ne_u32_e32 vcc, 0, v9
	v_cndmask_b32_e64 v9, 0, 1, vcc
	s_waitcnt lgkmcnt(0)
	v_lshrrev_b32_e32 v22, 16, v5
	v_mul_f16_sdwa v18, v108, v22 dst_sel:DWORD dst_unused:UNUSED_PAD src0_sel:WORD_1 src1_sel:DWORD
	v_fma_f16 v18, v108, v5, v18
	v_cvt_f32_f16_e32 v18, v18
	v_cmp_eq_u32_e32 vcc, s10, v11
	v_lshrrev_b32_e32 v11, 16, v19
	v_lshl_or_b32 v9, v9, 9, v15
	v_cvt_f64_f32_e32 v[20:21], v18
	v_cndmask_b32_e32 v9, v13, v9, vcc
	v_and_or_b32 v9, v11, s11, v9
	v_and_b32_e32 v7, 0xffff, v7
	v_mul_f64 v[18:19], v[20:21], s[2:3]
	v_lshl_or_b32 v7, v9, 16, v7
	v_mov_b32_e32 v9, s4
	v_add_co_u32_e32 v16, vcc, s5, v16
	v_addc_co_u32_e32 v17, vcc, v17, v9, vcc
	global_store_dword v[16:17], v7, off
	v_and_or_b32 v7, v19, s6, v18
	v_cmp_ne_u32_e32 vcc, 0, v7
	v_cndmask_b32_e64 v7, 0, 1, vcc
	v_lshrrev_b32_e32 v9, 8, v19
	v_bfe_u32 v11, v19, 20, 11
	v_mul_f16_sdwa v5, v108, v5 dst_sel:DWORD dst_unused:UNUSED_PAD src0_sel:WORD_1 src1_sel:DWORD
	v_and_or_b32 v7, v9, s7, v7
	v_sub_u32_e32 v13, 0x3f1, v11
	v_fma_f16 v5, v108, v22, -v5
	v_or_b32_e32 v9, 0x1000, v7
	v_med3_i32 v13, v13, 0, 13
	v_cvt_f32_f16_e32 v5, v5
	v_lshrrev_b32_e32 v18, v13, v9
	v_lshlrev_b32_e32 v13, v13, v18
	v_cmp_ne_u32_e32 vcc, v13, v9
	v_cndmask_b32_e64 v9, 0, 1, vcc
	v_add_u32_e32 v11, 0xfffffc10, v11
	v_cvt_f64_f32_e32 v[20:21], v5
	v_or_b32_e32 v9, v18, v9
	v_lshl_or_b32 v13, v11, 12, v7
	v_cmp_gt_i32_e32 vcc, 1, v11
	v_cndmask_b32_e32 v9, v13, v9, vcc
	v_and_b32_e32 v13, 7, v9
	v_cmp_lt_i32_e32 vcc, 5, v13
	v_cmp_eq_u32_e64 s[0:1], 3, v13
	v_mul_f64 v[20:21], v[20:21], s[2:3]
	v_lshrrev_b32_e32 v9, 2, v9
	s_or_b64 vcc, s[0:1], vcc
	v_addc_co_u32_e32 v5, vcc, 0, v9, vcc
	v_cmp_gt_i32_e32 vcc, 31, v11
	v_cndmask_b32_e32 v5, v15, v5, vcc
	v_cmp_ne_u32_e32 vcc, 0, v7
	v_cndmask_b32_e64 v7, 0, 1, vcc
	v_lshl_or_b32 v7, v7, 9, v15
	v_cmp_eq_u32_e32 vcc, s10, v11
	v_cndmask_b32_e32 v5, v5, v7, vcc
	v_lshrrev_b32_e32 v7, 16, v19
	v_and_or_b32 v5, v7, s11, v5
	v_and_or_b32 v7, v21, s6, v20
	v_cmp_ne_u32_e32 vcc, 0, v7
	v_cndmask_b32_e64 v7, 0, 1, vcc
	v_lshrrev_b32_e32 v9, 8, v21
	v_bfe_u32 v11, v21, 20, 11
	v_and_or_b32 v7, v9, s7, v7
	v_sub_u32_e32 v13, 0x3f1, v11
	v_or_b32_e32 v9, 0x1000, v7
	v_med3_i32 v13, v13, 0, 13
	v_lshrrev_b32_e32 v18, v13, v9
	v_lshlrev_b32_e32 v13, v13, v18
	v_cmp_ne_u32_e32 vcc, v13, v9
	v_cndmask_b32_e64 v9, 0, 1, vcc
	v_add_u32_e32 v11, 0xfffffc10, v11
	v_or_b32_e32 v9, v18, v9
	v_lshl_or_b32 v13, v11, 12, v7
	v_cmp_gt_i32_e32 vcc, 1, v11
	v_cndmask_b32_e32 v9, v13, v9, vcc
	v_and_b32_e32 v13, 7, v9
	v_cmp_lt_i32_e32 vcc, 5, v13
	v_cmp_eq_u32_e64 s[0:1], 3, v13
	v_lshrrev_b32_e32 v13, 16, v6
	v_mul_f16_sdwa v18, v105, v13 dst_sel:DWORD dst_unused:UNUSED_PAD src0_sel:WORD_1 src1_sel:DWORD
	v_fma_f16 v18, v105, v6, v18
	v_cvt_f32_f16_e32 v18, v18
	v_lshrrev_b32_e32 v9, 2, v9
	s_or_b64 vcc, s[0:1], vcc
	v_addc_co_u32_e32 v9, vcc, 0, v9, vcc
	v_cvt_f64_f32_e32 v[18:19], v18
	v_cmp_gt_i32_e32 vcc, 31, v11
	v_cndmask_b32_e32 v9, v15, v9, vcc
	v_cmp_ne_u32_e32 vcc, 0, v7
	v_mul_f64 v[18:19], v[18:19], s[2:3]
	v_cndmask_b32_e64 v7, 0, 1, vcc
	v_lshl_or_b32 v7, v7, 9, v15
	v_cmp_eq_u32_e32 vcc, s10, v11
	v_cndmask_b32_e32 v7, v9, v7, vcc
	v_lshrrev_b32_e32 v9, 16, v21
	v_and_or_b32 v7, v9, s11, v7
	v_and_b32_e32 v5, 0xffff, v5
	v_lshl_or_b32 v5, v7, 16, v5
	v_mov_b32_e32 v7, s4
	v_add_co_u32_e32 v16, vcc, s5, v16
	v_addc_co_u32_e32 v17, vcc, v17, v7, vcc
	global_store_dword v[16:17], v5, off
	v_and_or_b32 v5, v19, s6, v18
	v_cmp_ne_u32_e32 vcc, 0, v5
	v_cndmask_b32_e64 v5, 0, 1, vcc
	v_lshrrev_b32_e32 v7, 8, v19
	v_and_or_b32 v9, v7, s7, v5
	v_bfe_u32 v7, v19, 20, 11
	v_sub_u32_e32 v11, 0x3f1, v7
	v_or_b32_e32 v5, 0x1000, v9
	v_med3_i32 v11, v11, 0, 13
	v_lshrrev_b32_e32 v18, v11, v5
	v_lshlrev_b32_e32 v11, v11, v18
	v_mul_f16_sdwa v6, v105, v6 dst_sel:DWORD dst_unused:UNUSED_PAD src0_sel:WORD_1 src1_sel:DWORD
	v_cmp_ne_u32_e32 vcc, v11, v5
	v_fma_f16 v6, v105, v13, -v6
	v_cndmask_b32_e64 v5, 0, 1, vcc
	v_add_u32_e32 v11, 0xfffffc10, v7
	v_cvt_f32_f16_e32 v6, v6
	v_or_b32_e32 v5, v18, v5
	v_lshl_or_b32 v7, v11, 12, v9
	v_cmp_gt_i32_e32 vcc, 1, v11
	v_cndmask_b32_e32 v5, v7, v5, vcc
	v_and_b32_e32 v7, 7, v5
	v_cmp_lt_i32_e32 vcc, 5, v7
	v_cmp_eq_u32_e64 s[0:1], 3, v7
	v_lshrrev_b32_e32 v7, 2, v5
	v_cvt_f64_f32_e32 v[5:6], v6
	s_or_b64 vcc, s[0:1], vcc
	v_addc_co_u32_e32 v7, vcc, 0, v7, vcc
	v_cmp_gt_i32_e32 vcc, 31, v11
	v_cndmask_b32_e32 v13, v15, v7, vcc
	v_mul_f64 v[6:7], v[5:6], s[2:3]
	v_cmp_ne_u32_e32 vcc, 0, v9
	v_cndmask_b32_e64 v5, 0, 1, vcc
	v_lshl_or_b32 v5, v5, 9, v15
	v_cmp_eq_u32_e32 vcc, s10, v11
	v_cndmask_b32_e32 v5, v13, v5, vcc
	v_lshrrev_b32_e32 v9, 16, v19
	v_and_or_b32 v9, v9, s11, v5
	v_and_or_b32 v5, v7, s6, v6
	v_cmp_ne_u32_e32 vcc, 0, v5
	v_cndmask_b32_e64 v5, 0, 1, vcc
	v_lshrrev_b32_e32 v6, 8, v7
	v_and_or_b32 v11, v6, s7, v5
	v_bfe_u32 v6, v7, 20, 11
	v_sub_u32_e32 v13, 0x3f1, v6
	v_or_b32_e32 v5, 0x1000, v11
	v_med3_i32 v13, v13, 0, 13
	v_lshrrev_b32_e32 v18, v13, v5
	v_lshlrev_b32_e32 v13, v13, v18
	v_cmp_ne_u32_e32 vcc, v13, v5
	v_cndmask_b32_e64 v5, 0, 1, vcc
	v_add_u32_e32 v13, 0xfffffc10, v6
	v_or_b32_e32 v5, v18, v5
	v_lshl_or_b32 v6, v13, 12, v11
	v_cmp_gt_i32_e32 vcc, 1, v13
	v_cndmask_b32_e32 v5, v6, v5, vcc
	v_and_b32_e32 v6, 7, v5
	v_cmp_lt_i32_e32 vcc, 5, v6
	v_cmp_eq_u32_e64 s[0:1], 3, v6
	v_lshrrev_b32_e32 v5, 2, v5
	s_or_b64 vcc, s[0:1], vcc
	v_addc_co_u32_e32 v18, vcc, 0, v5, vcc
	ds_read2_b32 v[5:6], v109 offset0:144 offset1:244
	v_cmp_gt_i32_e32 vcc, 31, v13
	v_cndmask_b32_e32 v18, v15, v18, vcc
	v_cmp_ne_u32_e32 vcc, 0, v11
	v_cndmask_b32_e64 v11, 0, 1, vcc
	s_waitcnt lgkmcnt(0)
	v_lshrrev_b32_e32 v20, 16, v5
	v_mul_f16_sdwa v19, v104, v20 dst_sel:DWORD dst_unused:UNUSED_PAD src0_sel:WORD_1 src1_sel:DWORD
	v_fma_f16 v19, v104, v5, v19
	v_cvt_f32_f16_e32 v19, v19
	v_lshl_or_b32 v11, v11, 9, v15
	v_cmp_eq_u32_e32 vcc, s10, v13
	v_cndmask_b32_e32 v11, v18, v11, vcc
	v_cvt_f64_f32_e32 v[18:19], v19
	v_mad_u64_u32 v[16:17], s[0:1], s8, v93, v[16:17]
	v_lshrrev_b32_e32 v7, 16, v7
	v_mul_f64 v[18:19], v[18:19], s[2:3]
	s_mul_i32 s0, s9, 0xffffd760
	v_and_or_b32 v7, v7, s11, v11
	v_and_b32_e32 v9, 0xffff, v9
	s_sub_i32 s9, s0, s8
	v_lshl_or_b32 v7, v7, 16, v9
	v_add_u32_e32 v17, s9, v17
	global_store_dword v[16:17], v7, off
	v_and_or_b32 v7, v19, s6, v18
	v_cmp_ne_u32_e32 vcc, 0, v7
	v_cndmask_b32_e64 v7, 0, 1, vcc
	v_lshrrev_b32_e32 v9, 8, v19
	v_bfe_u32 v11, v19, 20, 11
	v_mul_f16_sdwa v5, v104, v5 dst_sel:DWORD dst_unused:UNUSED_PAD src0_sel:WORD_1 src1_sel:DWORD
	v_and_or_b32 v7, v9, s7, v7
	v_sub_u32_e32 v13, 0x3f1, v11
	v_fma_f16 v5, v104, v20, -v5
	v_or_b32_e32 v9, 0x1000, v7
	v_med3_i32 v13, v13, 0, 13
	v_cvt_f32_f16_e32 v5, v5
	v_lshrrev_b32_e32 v18, v13, v9
	v_lshlrev_b32_e32 v13, v13, v18
	v_cmp_ne_u32_e32 vcc, v13, v9
	v_cndmask_b32_e64 v9, 0, 1, vcc
	v_add_u32_e32 v11, 0xfffffc10, v11
	v_cvt_f64_f32_e32 v[20:21], v5
	v_or_b32_e32 v9, v18, v9
	v_lshl_or_b32 v13, v11, 12, v7
	v_cmp_gt_i32_e32 vcc, 1, v11
	v_cndmask_b32_e32 v9, v13, v9, vcc
	v_and_b32_e32 v13, 7, v9
	v_cmp_lt_i32_e32 vcc, 5, v13
	v_cmp_eq_u32_e64 s[0:1], 3, v13
	v_mul_f64 v[20:21], v[20:21], s[2:3]
	v_lshrrev_b32_e32 v9, 2, v9
	s_or_b64 vcc, s[0:1], vcc
	v_addc_co_u32_e32 v5, vcc, 0, v9, vcc
	v_cmp_gt_i32_e32 vcc, 31, v11
	v_cndmask_b32_e32 v5, v15, v5, vcc
	v_cmp_ne_u32_e32 vcc, 0, v7
	v_cndmask_b32_e64 v7, 0, 1, vcc
	v_lshl_or_b32 v7, v7, 9, v15
	v_cmp_eq_u32_e32 vcc, s10, v11
	v_cndmask_b32_e32 v5, v5, v7, vcc
	v_lshrrev_b32_e32 v7, 16, v19
	v_and_or_b32 v5, v7, s11, v5
	v_and_or_b32 v7, v21, s6, v20
	v_cmp_ne_u32_e32 vcc, 0, v7
	v_cndmask_b32_e64 v7, 0, 1, vcc
	v_lshrrev_b32_e32 v9, 8, v21
	v_bfe_u32 v11, v21, 20, 11
	v_and_or_b32 v7, v9, s7, v7
	v_sub_u32_e32 v13, 0x3f1, v11
	v_or_b32_e32 v9, 0x1000, v7
	v_med3_i32 v13, v13, 0, 13
	v_lshrrev_b32_e32 v18, v13, v9
	v_lshlrev_b32_e32 v13, v13, v18
	v_cmp_ne_u32_e32 vcc, v13, v9
	v_cndmask_b32_e64 v9, 0, 1, vcc
	v_add_u32_e32 v11, 0xfffffc10, v11
	v_or_b32_e32 v9, v18, v9
	v_lshl_or_b32 v13, v11, 12, v7
	v_cmp_gt_i32_e32 vcc, 1, v11
	v_cndmask_b32_e32 v9, v13, v9, vcc
	v_and_b32_e32 v13, 7, v9
	v_cmp_lt_i32_e32 vcc, 5, v13
	v_cmp_eq_u32_e64 s[0:1], 3, v13
	v_lshrrev_b32_e32 v13, 16, v8
	v_mul_f16_sdwa v18, v101, v13 dst_sel:DWORD dst_unused:UNUSED_PAD src0_sel:WORD_1 src1_sel:DWORD
	v_fma_f16 v18, v101, v8, v18
	v_cvt_f32_f16_e32 v18, v18
	v_lshrrev_b32_e32 v9, 2, v9
	s_or_b64 vcc, s[0:1], vcc
	v_addc_co_u32_e32 v9, vcc, 0, v9, vcc
	v_cvt_f64_f32_e32 v[18:19], v18
	v_cmp_gt_i32_e32 vcc, 31, v11
	v_cndmask_b32_e32 v9, v15, v9, vcc
	v_cmp_ne_u32_e32 vcc, 0, v7
	v_mul_f64 v[18:19], v[18:19], s[2:3]
	v_cndmask_b32_e64 v7, 0, 1, vcc
	v_lshl_or_b32 v7, v7, 9, v15
	v_cmp_eq_u32_e32 vcc, s10, v11
	v_cndmask_b32_e32 v7, v9, v7, vcc
	v_lshrrev_b32_e32 v9, 16, v21
	v_and_or_b32 v7, v9, s11, v7
	v_and_b32_e32 v5, 0xffff, v5
	v_lshl_or_b32 v5, v7, 16, v5
	v_mov_b32_e32 v7, s4
	v_add_co_u32_e32 v16, vcc, s5, v16
	v_addc_co_u32_e32 v17, vcc, v17, v7, vcc
	global_store_dword v[16:17], v5, off
	v_and_or_b32 v5, v19, s6, v18
	v_cmp_ne_u32_e32 vcc, 0, v5
	v_cndmask_b32_e64 v5, 0, 1, vcc
	v_lshrrev_b32_e32 v7, 8, v19
	v_bfe_u32 v9, v19, 20, 11
	v_and_or_b32 v5, v7, s7, v5
	v_sub_u32_e32 v11, 0x3f1, v9
	v_or_b32_e32 v7, 0x1000, v5
	v_med3_i32 v11, v11, 0, 13
	v_lshrrev_b32_e32 v18, v11, v7
	v_lshlrev_b32_e32 v11, v11, v18
	v_mul_f16_sdwa v8, v101, v8 dst_sel:DWORD dst_unused:UNUSED_PAD src0_sel:WORD_1 src1_sel:DWORD
	v_cmp_ne_u32_e32 vcc, v11, v7
	v_fma_f16 v8, v101, v13, -v8
	v_cndmask_b32_e64 v7, 0, 1, vcc
	v_add_u32_e32 v11, 0xfffffc10, v9
	v_cvt_f32_f16_e32 v8, v8
	v_or_b32_e32 v7, v18, v7
	v_lshl_or_b32 v9, v11, 12, v5
	v_cmp_gt_i32_e32 vcc, 1, v11
	v_cndmask_b32_e32 v7, v9, v7, vcc
	v_and_b32_e32 v9, 7, v7
	v_cmp_lt_i32_e32 vcc, 5, v9
	v_cmp_eq_u32_e64 s[0:1], 3, v9
	v_lshrrev_b32_e32 v9, 2, v7
	v_cvt_f64_f32_e32 v[7:8], v8
	s_or_b64 vcc, s[0:1], vcc
	v_addc_co_u32_e32 v9, vcc, 0, v9, vcc
	v_cmp_gt_i32_e32 vcc, 31, v11
	v_cndmask_b32_e32 v13, v15, v9, vcc
	v_mul_f64 v[8:9], v[7:8], s[2:3]
	v_cmp_ne_u32_e32 vcc, 0, v5
	v_cndmask_b32_e64 v5, 0, 1, vcc
	v_lshl_or_b32 v5, v5, 9, v15
	v_cmp_eq_u32_e32 vcc, s10, v11
	v_cndmask_b32_e32 v5, v13, v5, vcc
	v_lshrrev_b32_e32 v7, 16, v19
	v_and_or_b32 v5, v7, s11, v5
	v_and_or_b32 v7, v9, s6, v8
	v_cmp_ne_u32_e32 vcc, 0, v7
	v_cndmask_b32_e64 v7, 0, 1, vcc
	v_lshrrev_b32_e32 v8, 8, v9
	v_and_or_b32 v11, v8, s7, v7
	v_bfe_u32 v8, v9, 20, 11
	v_sub_u32_e32 v13, 0x3f1, v8
	v_or_b32_e32 v7, 0x1000, v11
	v_med3_i32 v13, v13, 0, 13
	v_lshrrev_b32_e32 v18, v13, v7
	v_lshlrev_b32_e32 v13, v13, v18
	v_cmp_ne_u32_e32 vcc, v13, v7
	v_cndmask_b32_e64 v7, 0, 1, vcc
	v_add_u32_e32 v13, 0xfffffc10, v8
	v_or_b32_e32 v7, v18, v7
	v_lshl_or_b32 v8, v13, 12, v11
	v_cmp_gt_i32_e32 vcc, 1, v13
	v_cndmask_b32_e32 v7, v8, v7, vcc
	v_and_b32_e32 v8, 7, v7
	v_cmp_lt_i32_e32 vcc, 5, v8
	v_cmp_eq_u32_e64 s[0:1], 3, v8
	v_lshrrev_b32_e32 v7, 2, v7
	s_or_b64 vcc, s[0:1], vcc
	v_addc_co_u32_e32 v18, vcc, 0, v7, vcc
	ds_read2_b32 v[7:8], v107 offset0:104 offset1:204
	v_cmp_gt_i32_e32 vcc, 31, v13
	v_cndmask_b32_e32 v18, v15, v18, vcc
	v_cmp_ne_u32_e32 vcc, 0, v11
	v_cndmask_b32_e64 v11, 0, 1, vcc
	s_waitcnt lgkmcnt(0)
	v_lshrrev_b32_e32 v20, 16, v7
	v_mul_f16_sdwa v19, v102, v20 dst_sel:DWORD dst_unused:UNUSED_PAD src0_sel:WORD_1 src1_sel:DWORD
	v_fma_f16 v19, v102, v7, v19
	v_cvt_f32_f16_e32 v19, v19
	v_lshl_or_b32 v11, v11, 9, v15
	v_cmp_eq_u32_e32 vcc, s10, v13
	v_cndmask_b32_e32 v11, v18, v11, vcc
	v_cvt_f64_f32_e32 v[18:19], v19
	v_lshrrev_b32_e32 v9, 16, v9
	v_and_or_b32 v9, v9, s11, v11
	v_and_b32_e32 v5, 0xffff, v5
	v_mul_f64 v[18:19], v[18:19], s[2:3]
	v_lshl_or_b32 v5, v9, 16, v5
	v_mov_b32_e32 v9, s4
	v_add_co_u32_e32 v16, vcc, s5, v16
	v_addc_co_u32_e32 v17, vcc, v17, v9, vcc
	global_store_dword v[16:17], v5, off
	v_and_or_b32 v5, v19, s6, v18
	v_cmp_ne_u32_e32 vcc, 0, v5
	v_cndmask_b32_e64 v5, 0, 1, vcc
	v_lshrrev_b32_e32 v9, 8, v19
	v_bfe_u32 v11, v19, 20, 11
	v_mul_f16_sdwa v7, v102, v7 dst_sel:DWORD dst_unused:UNUSED_PAD src0_sel:WORD_1 src1_sel:DWORD
	v_and_or_b32 v5, v9, s7, v5
	v_sub_u32_e32 v13, 0x3f1, v11
	v_fma_f16 v7, v102, v20, -v7
	v_or_b32_e32 v9, 0x1000, v5
	v_med3_i32 v13, v13, 0, 13
	v_cvt_f32_f16_e32 v7, v7
	v_lshrrev_b32_e32 v18, v13, v9
	v_lshlrev_b32_e32 v13, v13, v18
	v_cmp_ne_u32_e32 vcc, v13, v9
	v_cndmask_b32_e64 v9, 0, 1, vcc
	v_add_u32_e32 v11, 0xfffffc10, v11
	v_cvt_f64_f32_e32 v[20:21], v7
	v_or_b32_e32 v9, v18, v9
	v_lshl_or_b32 v13, v11, 12, v5
	v_cmp_gt_i32_e32 vcc, 1, v11
	v_cndmask_b32_e32 v9, v13, v9, vcc
	v_and_b32_e32 v13, 7, v9
	v_cmp_lt_i32_e32 vcc, 5, v13
	v_cmp_eq_u32_e64 s[0:1], 3, v13
	v_mul_f64 v[20:21], v[20:21], s[2:3]
	v_lshrrev_b32_e32 v9, 2, v9
	s_or_b64 vcc, s[0:1], vcc
	v_addc_co_u32_e32 v7, vcc, 0, v9, vcc
	v_cmp_gt_i32_e32 vcc, 31, v11
	v_cndmask_b32_e32 v7, v15, v7, vcc
	v_cmp_ne_u32_e32 vcc, 0, v5
	v_cndmask_b32_e64 v5, 0, 1, vcc
	v_lshl_or_b32 v5, v5, 9, v15
	v_cmp_eq_u32_e32 vcc, s10, v11
	v_cndmask_b32_e32 v5, v7, v5, vcc
	v_lshrrev_b32_e32 v7, 16, v19
	v_and_or_b32 v5, v7, s11, v5
	v_and_or_b32 v7, v21, s6, v20
	v_cmp_ne_u32_e32 vcc, 0, v7
	v_cndmask_b32_e64 v7, 0, 1, vcc
	v_lshrrev_b32_e32 v9, 8, v21
	v_bfe_u32 v11, v21, 20, 11
	v_and_or_b32 v7, v9, s7, v7
	v_sub_u32_e32 v13, 0x3f1, v11
	v_or_b32_e32 v9, 0x1000, v7
	v_med3_i32 v13, v13, 0, 13
	v_lshrrev_b32_e32 v18, v13, v9
	v_lshlrev_b32_e32 v13, v13, v18
	v_cmp_ne_u32_e32 vcc, v13, v9
	v_cndmask_b32_e64 v9, 0, 1, vcc
	v_add_u32_e32 v11, 0xfffffc10, v11
	v_or_b32_e32 v9, v18, v9
	v_lshl_or_b32 v13, v11, 12, v7
	v_cmp_gt_i32_e32 vcc, 1, v11
	v_cndmask_b32_e32 v9, v13, v9, vcc
	v_and_b32_e32 v13, 7, v9
	v_cmp_lt_i32_e32 vcc, 5, v13
	v_cmp_eq_u32_e64 s[0:1], 3, v13
	v_lshrrev_b32_e32 v13, 16, v10
	v_mul_f16_sdwa v18, v100, v13 dst_sel:DWORD dst_unused:UNUSED_PAD src0_sel:WORD_1 src1_sel:DWORD
	v_fma_f16 v18, v100, v10, v18
	v_cvt_f32_f16_e32 v18, v18
	v_lshrrev_b32_e32 v9, 2, v9
	s_or_b64 vcc, s[0:1], vcc
	v_addc_co_u32_e32 v9, vcc, 0, v9, vcc
	v_cvt_f64_f32_e32 v[18:19], v18
	v_cmp_gt_i32_e32 vcc, 31, v11
	v_cndmask_b32_e32 v9, v15, v9, vcc
	v_cmp_ne_u32_e32 vcc, 0, v7
	v_mul_f64 v[18:19], v[18:19], s[2:3]
	v_cndmask_b32_e64 v7, 0, 1, vcc
	v_lshl_or_b32 v7, v7, 9, v15
	v_cmp_eq_u32_e32 vcc, s10, v11
	v_cndmask_b32_e32 v7, v9, v7, vcc
	v_lshrrev_b32_e32 v9, 16, v21
	v_and_or_b32 v7, v9, s11, v7
	v_and_b32_e32 v5, 0xffff, v5
	v_lshl_or_b32 v5, v7, 16, v5
	v_mov_b32_e32 v7, s4
	v_add_co_u32_e32 v16, vcc, s5, v16
	v_addc_co_u32_e32 v17, vcc, v17, v7, vcc
	global_store_dword v[16:17], v5, off
	v_and_or_b32 v5, v19, s6, v18
	v_cmp_ne_u32_e32 vcc, 0, v5
	v_cndmask_b32_e64 v5, 0, 1, vcc
	v_lshrrev_b32_e32 v7, 8, v19
	v_bfe_u32 v9, v19, 20, 11
	v_and_or_b32 v5, v7, s7, v5
	v_sub_u32_e32 v11, 0x3f1, v9
	v_or_b32_e32 v7, 0x1000, v5
	v_med3_i32 v11, v11, 0, 13
	v_lshrrev_b32_e32 v18, v11, v7
	v_lshlrev_b32_e32 v11, v11, v18
	v_cmp_ne_u32_e32 vcc, v11, v7
	v_mul_f16_sdwa v10, v100, v10 dst_sel:DWORD dst_unused:UNUSED_PAD src0_sel:WORD_1 src1_sel:DWORD
	v_cndmask_b32_e64 v7, 0, 1, vcc
	v_fma_f16 v10, v100, v13, -v10
	v_or_b32_e32 v7, v18, v7
	v_add_u32_e32 v18, 0xfffffc10, v9
	v_cvt_f32_f16_e32 v10, v10
	v_lshl_or_b32 v9, v18, 12, v5
	v_cmp_gt_i32_e32 vcc, 1, v18
	v_cndmask_b32_e32 v7, v9, v7, vcc
	v_and_b32_e32 v9, 7, v7
	v_cmp_lt_i32_e32 vcc, 5, v9
	v_cmp_eq_u32_e64 s[0:1], 3, v9
	v_cvt_f64_f32_e32 v[9:10], v10
	v_lshrrev_b32_e32 v7, 2, v7
	s_or_b64 vcc, s[0:1], vcc
	v_addc_co_u32_e32 v7, vcc, 0, v7, vcc
	v_mul_f64 v[10:11], v[9:10], s[2:3]
	v_cmp_gt_i32_e32 vcc, 31, v18
	v_cndmask_b32_e32 v7, v15, v7, vcc
	v_cmp_ne_u32_e32 vcc, 0, v5
	v_cndmask_b32_e64 v5, 0, 1, vcc
	v_lshl_or_b32 v5, v5, 9, v15
	v_cmp_eq_u32_e32 vcc, s10, v18
	v_cndmask_b32_e32 v5, v7, v5, vcc
	v_lshrrev_b32_e32 v7, 16, v19
	v_and_or_b32 v5, v7, s11, v5
	v_and_or_b32 v7, v11, s6, v10
	v_cmp_ne_u32_e32 vcc, 0, v7
	v_cndmask_b32_e64 v7, 0, 1, vcc
	v_lshrrev_b32_e32 v9, 8, v11
	v_bfe_u32 v10, v11, 20, 11
	v_and_or_b32 v7, v9, s7, v7
	v_sub_u32_e32 v13, 0x3f1, v10
	v_or_b32_e32 v9, 0x1000, v7
	v_med3_i32 v13, v13, 0, 13
	v_lshrrev_b32_e32 v18, v13, v9
	v_lshlrev_b32_e32 v13, v13, v18
	v_cmp_ne_u32_e32 vcc, v13, v9
	v_cndmask_b32_e64 v9, 0, 1, vcc
	v_add_u32_e32 v13, 0xfffffc10, v10
	v_or_b32_e32 v9, v18, v9
	v_lshl_or_b32 v10, v13, 12, v7
	v_cmp_gt_i32_e32 vcc, 1, v13
	v_cndmask_b32_e32 v9, v10, v9, vcc
	v_and_b32_e32 v10, 7, v9
	v_cmp_lt_i32_e32 vcc, 5, v10
	v_cmp_eq_u32_e64 s[0:1], 3, v10
	v_lshrrev_b32_e32 v9, 2, v9
	s_or_b64 vcc, s[0:1], vcc
	v_addc_co_u32_e32 v18, vcc, 0, v9, vcc
	ds_read2_b32 v[9:10], v106 offset0:64 offset1:164
	v_cmp_gt_i32_e32 vcc, 31, v13
	v_cndmask_b32_e32 v18, v15, v18, vcc
	v_cmp_ne_u32_e32 vcc, 0, v7
	v_cndmask_b32_e64 v7, 0, 1, vcc
	s_waitcnt lgkmcnt(0)
	v_lshrrev_b32_e32 v20, 16, v9
	v_mul_f16_sdwa v19, v98, v20 dst_sel:DWORD dst_unused:UNUSED_PAD src0_sel:WORD_1 src1_sel:DWORD
	v_fma_f16 v19, v98, v9, v19
	v_cvt_f32_f16_e32 v19, v19
	v_lshl_or_b32 v7, v7, 9, v15
	v_cmp_eq_u32_e32 vcc, s10, v13
	v_cndmask_b32_e32 v7, v18, v7, vcc
	v_cvt_f64_f32_e32 v[18:19], v19
	v_lshrrev_b32_e32 v11, 16, v11
	v_and_or_b32 v7, v11, s11, v7
	v_and_b32_e32 v5, 0xffff, v5
	v_mul_f64 v[18:19], v[18:19], s[2:3]
	v_lshl_or_b32 v5, v7, 16, v5
	v_mov_b32_e32 v7, s4
	v_add_co_u32_e32 v16, vcc, s5, v16
	v_addc_co_u32_e32 v17, vcc, v17, v7, vcc
	global_store_dword v[16:17], v5, off
	v_and_or_b32 v5, v19, s6, v18
	v_cmp_ne_u32_e32 vcc, 0, v5
	v_cndmask_b32_e64 v5, 0, 1, vcc
	v_lshrrev_b32_e32 v7, 8, v19
	v_bfe_u32 v11, v19, 20, 11
	v_mul_f16_sdwa v9, v98, v9 dst_sel:DWORD dst_unused:UNUSED_PAD src0_sel:WORD_1 src1_sel:DWORD
	v_and_or_b32 v5, v7, s7, v5
	v_sub_u32_e32 v13, 0x3f1, v11
	v_fma_f16 v9, v98, v20, -v9
	v_or_b32_e32 v7, 0x1000, v5
	v_med3_i32 v13, v13, 0, 13
	v_cvt_f32_f16_e32 v9, v9
	v_lshrrev_b32_e32 v18, v13, v7
	v_lshlrev_b32_e32 v13, v13, v18
	v_cmp_ne_u32_e32 vcc, v13, v7
	v_cndmask_b32_e64 v7, 0, 1, vcc
	v_add_u32_e32 v11, 0xfffffc10, v11
	v_cvt_f64_f32_e32 v[20:21], v9
	v_or_b32_e32 v7, v18, v7
	v_lshl_or_b32 v13, v11, 12, v5
	v_cmp_gt_i32_e32 vcc, 1, v11
	v_cndmask_b32_e32 v7, v13, v7, vcc
	v_and_b32_e32 v13, 7, v7
	v_cmp_lt_i32_e32 vcc, 5, v13
	v_cmp_eq_u32_e64 s[0:1], 3, v13
	v_mul_f64 v[20:21], v[20:21], s[2:3]
	v_lshrrev_b32_e32 v7, 2, v7
	s_or_b64 vcc, s[0:1], vcc
	v_addc_co_u32_e32 v7, vcc, 0, v7, vcc
	v_cmp_gt_i32_e32 vcc, 31, v11
	v_cndmask_b32_e32 v7, v15, v7, vcc
	v_cmp_ne_u32_e32 vcc, 0, v5
	v_cndmask_b32_e64 v5, 0, 1, vcc
	v_lshl_or_b32 v5, v5, 9, v15
	v_cmp_eq_u32_e32 vcc, s10, v11
	v_cndmask_b32_e32 v5, v7, v5, vcc
	v_lshrrev_b32_e32 v7, 16, v19
	v_and_or_b32 v5, v7, s11, v5
	v_and_or_b32 v7, v21, s6, v20
	v_cmp_ne_u32_e32 vcc, 0, v7
	v_cndmask_b32_e64 v7, 0, 1, vcc
	v_lshrrev_b32_e32 v9, 8, v21
	v_bfe_u32 v11, v21, 20, 11
	v_and_or_b32 v7, v9, s7, v7
	v_sub_u32_e32 v13, 0x3f1, v11
	v_or_b32_e32 v9, 0x1000, v7
	v_med3_i32 v13, v13, 0, 13
	v_lshrrev_b32_e32 v18, v13, v9
	v_lshlrev_b32_e32 v13, v13, v18
	v_cmp_ne_u32_e32 vcc, v13, v9
	v_cndmask_b32_e64 v9, 0, 1, vcc
	v_add_u32_e32 v11, 0xfffffc10, v11
	v_or_b32_e32 v9, v18, v9
	v_lshl_or_b32 v13, v11, 12, v7
	v_cmp_gt_i32_e32 vcc, 1, v11
	v_cndmask_b32_e32 v9, v13, v9, vcc
	v_and_b32_e32 v13, 7, v9
	v_cmp_lt_i32_e32 vcc, 5, v13
	v_cmp_eq_u32_e64 s[0:1], 3, v13
	v_lshrrev_b32_e32 v13, 16, v12
	v_mul_f16_sdwa v18, v99, v13 dst_sel:DWORD dst_unused:UNUSED_PAD src0_sel:WORD_1 src1_sel:DWORD
	v_fma_f16 v18, v99, v12, v18
	v_cvt_f32_f16_e32 v18, v18
	v_lshrrev_b32_e32 v9, 2, v9
	s_or_b64 vcc, s[0:1], vcc
	v_addc_co_u32_e32 v9, vcc, 0, v9, vcc
	v_cvt_f64_f32_e32 v[18:19], v18
	v_cmp_gt_i32_e32 vcc, 31, v11
	v_cndmask_b32_e32 v9, v15, v9, vcc
	v_cmp_ne_u32_e32 vcc, 0, v7
	v_mul_f64 v[18:19], v[18:19], s[2:3]
	v_cndmask_b32_e64 v7, 0, 1, vcc
	v_lshl_or_b32 v7, v7, 9, v15
	v_cmp_eq_u32_e32 vcc, s10, v11
	v_cndmask_b32_e32 v7, v9, v7, vcc
	v_lshrrev_b32_e32 v9, 16, v21
	v_and_or_b32 v7, v9, s11, v7
	v_and_b32_e32 v5, 0xffff, v5
	v_lshl_or_b32 v5, v7, 16, v5
	v_mov_b32_e32 v7, s4
	v_add_co_u32_e32 v16, vcc, s5, v16
	v_addc_co_u32_e32 v17, vcc, v17, v7, vcc
	global_store_dword v[16:17], v5, off
	v_and_or_b32 v5, v19, s6, v18
	v_cmp_ne_u32_e32 vcc, 0, v5
	v_cndmask_b32_e64 v5, 0, 1, vcc
	v_lshrrev_b32_e32 v7, 8, v19
	v_bfe_u32 v9, v19, 20, 11
	v_and_or_b32 v5, v7, s7, v5
	v_sub_u32_e32 v11, 0x3f1, v9
	v_or_b32_e32 v7, 0x1000, v5
	v_med3_i32 v11, v11, 0, 13
	v_lshrrev_b32_e32 v18, v11, v7
	v_lshlrev_b32_e32 v11, v11, v18
	v_mul_f16_sdwa v12, v99, v12 dst_sel:DWORD dst_unused:UNUSED_PAD src0_sel:WORD_1 src1_sel:DWORD
	v_cmp_ne_u32_e32 vcc, v11, v7
	v_fma_f16 v12, v99, v13, -v12
	v_cndmask_b32_e64 v7, 0, 1, vcc
	v_add_u32_e32 v9, 0xfffffc10, v9
	v_cvt_f32_f16_e32 v12, v12
	v_or_b32_e32 v7, v18, v7
	v_lshl_or_b32 v11, v9, 12, v5
	v_cmp_gt_i32_e32 vcc, 1, v9
	v_cndmask_b32_e32 v7, v11, v7, vcc
	v_and_b32_e32 v11, 7, v7
	v_cmp_lt_i32_e32 vcc, 5, v11
	v_cmp_eq_u32_e64 s[0:1], 3, v11
	v_cvt_f64_f32_e32 v[11:12], v12
	v_lshrrev_b32_e32 v7, 2, v7
	s_or_b64 vcc, s[0:1], vcc
	v_addc_co_u32_e32 v7, vcc, 0, v7, vcc
	v_mul_f64 v[12:13], v[11:12], s[2:3]
	v_cmp_gt_i32_e32 vcc, 31, v9
	v_cndmask_b32_e32 v7, v15, v7, vcc
	v_cmp_ne_u32_e32 vcc, 0, v5
	v_cndmask_b32_e64 v5, 0, 1, vcc
	v_lshl_or_b32 v5, v5, 9, v15
	v_cmp_eq_u32_e32 vcc, s10, v9
	v_cndmask_b32_e32 v5, v7, v5, vcc
	v_lshrrev_b32_e32 v7, 16, v19
	v_and_or_b32 v5, v7, s11, v5
	v_and_or_b32 v7, v13, s6, v12
	v_cmp_ne_u32_e32 vcc, 0, v7
	v_cndmask_b32_e64 v7, 0, 1, vcc
	v_lshrrev_b32_e32 v9, 8, v13
	v_bfe_u32 v11, v13, 20, 11
	v_and_or_b32 v7, v9, s7, v7
	v_sub_u32_e32 v12, 0x3f1, v11
	v_or_b32_e32 v9, 0x1000, v7
	v_med3_i32 v12, v12, 0, 13
	v_lshrrev_b32_e32 v18, v12, v9
	v_lshlrev_b32_e32 v12, v12, v18
	v_cmp_ne_u32_e32 vcc, v12, v9
	v_cndmask_b32_e64 v9, 0, 1, vcc
	v_or_b32_e32 v9, v18, v9
	v_add_u32_e32 v18, 0xfffffc10, v11
	v_lshl_or_b32 v11, v18, 12, v7
	v_cmp_gt_i32_e32 vcc, 1, v18
	v_cndmask_b32_e32 v9, v11, v9, vcc
	v_and_b32_e32 v11, 7, v9
	v_cmp_lt_i32_e32 vcc, 5, v11
	v_cmp_eq_u32_e64 s[0:1], 3, v11
	ds_read2_b32 v[11:12], v103 offset0:152 offset1:252
	v_lshrrev_b32_e32 v9, 2, v9
	s_or_b64 vcc, s[0:1], vcc
	v_addc_co_u32_e32 v9, vcc, 0, v9, vcc
	s_waitcnt lgkmcnt(0)
	v_lshrrev_b32_e32 v20, 16, v11
	v_mul_f16_sdwa v19, v96, v20 dst_sel:DWORD dst_unused:UNUSED_PAD src0_sel:WORD_1 src1_sel:DWORD
	v_fma_f16 v19, v96, v11, v19
	v_cvt_f32_f16_e32 v19, v19
	v_cmp_gt_i32_e32 vcc, 31, v18
	v_cndmask_b32_e32 v9, v15, v9, vcc
	v_cmp_ne_u32_e32 vcc, 0, v7
	v_cndmask_b32_e64 v7, 0, 1, vcc
	v_cmp_eq_u32_e32 vcc, s10, v18
	v_cvt_f64_f32_e32 v[18:19], v19
	v_lshl_or_b32 v7, v7, 9, v15
	v_cndmask_b32_e32 v7, v9, v7, vcc
	v_lshrrev_b32_e32 v9, 16, v13
	v_mul_f64 v[18:19], v[18:19], s[2:3]
	v_and_or_b32 v7, v9, s11, v7
	v_and_b32_e32 v5, 0xffff, v5
	v_lshl_or_b32 v5, v7, 16, v5
	v_mov_b32_e32 v7, s4
	v_add_co_u32_e32 v16, vcc, s5, v16
	v_addc_co_u32_e32 v17, vcc, v17, v7, vcc
	global_store_dword v[16:17], v5, off
	v_and_or_b32 v5, v19, s6, v18
	v_cmp_ne_u32_e32 vcc, 0, v5
	v_cndmask_b32_e64 v5, 0, 1, vcc
	v_lshrrev_b32_e32 v7, 8, v19
	v_bfe_u32 v9, v19, 20, 11
	v_mul_f16_sdwa v11, v96, v11 dst_sel:DWORD dst_unused:UNUSED_PAD src0_sel:WORD_1 src1_sel:DWORD
	v_and_or_b32 v5, v7, s7, v5
	v_sub_u32_e32 v13, 0x3f1, v9
	v_fma_f16 v11, v96, v20, -v11
	v_or_b32_e32 v7, 0x1000, v5
	v_med3_i32 v13, v13, 0, 13
	v_cvt_f32_f16_e32 v11, v11
	v_lshrrev_b32_e32 v18, v13, v7
	v_lshlrev_b32_e32 v13, v13, v18
	v_cmp_ne_u32_e32 vcc, v13, v7
	v_cndmask_b32_e64 v7, 0, 1, vcc
	v_add_u32_e32 v9, 0xfffffc10, v9
	v_cvt_f64_f32_e32 v[20:21], v11
	v_or_b32_e32 v7, v18, v7
	v_lshl_or_b32 v13, v9, 12, v5
	v_cmp_gt_i32_e32 vcc, 1, v9
	v_cndmask_b32_e32 v7, v13, v7, vcc
	v_and_b32_e32 v13, 7, v7
	v_cmp_lt_i32_e32 vcc, 5, v13
	v_cmp_eq_u32_e64 s[0:1], 3, v13
	v_mul_f64 v[20:21], v[20:21], s[2:3]
	v_lshrrev_b32_e32 v7, 2, v7
	s_or_b64 vcc, s[0:1], vcc
	v_addc_co_u32_e32 v7, vcc, 0, v7, vcc
	v_cmp_gt_i32_e32 vcc, 31, v9
	v_cndmask_b32_e32 v7, v15, v7, vcc
	v_cmp_ne_u32_e32 vcc, 0, v5
	v_cndmask_b32_e64 v5, 0, 1, vcc
	v_lshl_or_b32 v5, v5, 9, v15
	v_cmp_eq_u32_e32 vcc, s10, v9
	v_cndmask_b32_e32 v5, v7, v5, vcc
	v_lshrrev_b32_e32 v7, 16, v19
	v_and_or_b32 v5, v7, s11, v5
	v_and_or_b32 v7, v21, s6, v20
	v_cmp_ne_u32_e32 vcc, 0, v7
	v_cndmask_b32_e64 v7, 0, 1, vcc
	v_lshrrev_b32_e32 v9, 8, v21
	v_bfe_u32 v11, v21, 20, 11
	v_and_or_b32 v7, v9, s7, v7
	v_sub_u32_e32 v13, 0x3f1, v11
	v_or_b32_e32 v9, 0x1000, v7
	v_med3_i32 v13, v13, 0, 13
	v_lshrrev_b32_e32 v18, v13, v9
	v_lshlrev_b32_e32 v13, v13, v18
	v_cmp_ne_u32_e32 vcc, v13, v9
	v_cndmask_b32_e64 v9, 0, 1, vcc
	v_add_u32_e32 v11, 0xfffffc10, v11
	v_or_b32_e32 v9, v18, v9
	v_lshl_or_b32 v13, v11, 12, v7
	v_cmp_gt_i32_e32 vcc, 1, v11
	v_cndmask_b32_e32 v9, v13, v9, vcc
	v_and_b32_e32 v13, 7, v9
	v_cmp_lt_i32_e32 vcc, 5, v13
	v_cmp_eq_u32_e64 s[0:1], 3, v13
	v_lshrrev_b32_e32 v13, 16, v14
	v_mul_f16_sdwa v18, v95, v13 dst_sel:DWORD dst_unused:UNUSED_PAD src0_sel:WORD_1 src1_sel:DWORD
	v_fma_f16 v18, v95, v14, v18
	v_cvt_f32_f16_e32 v18, v18
	v_lshrrev_b32_e32 v9, 2, v9
	s_or_b64 vcc, s[0:1], vcc
	v_addc_co_u32_e32 v9, vcc, 0, v9, vcc
	v_cvt_f64_f32_e32 v[18:19], v18
	v_cmp_gt_i32_e32 vcc, 31, v11
	v_cndmask_b32_e32 v9, v15, v9, vcc
	v_cmp_ne_u32_e32 vcc, 0, v7
	v_mul_f64 v[18:19], v[18:19], s[2:3]
	v_cndmask_b32_e64 v7, 0, 1, vcc
	v_lshl_or_b32 v7, v7, 9, v15
	v_cmp_eq_u32_e32 vcc, s10, v11
	v_cndmask_b32_e32 v7, v9, v7, vcc
	v_lshrrev_b32_e32 v9, 16, v21
	v_and_or_b32 v7, v9, s11, v7
	v_and_b32_e32 v5, 0xffff, v5
	v_lshl_or_b32 v5, v7, 16, v5
	v_mov_b32_e32 v7, s4
	v_add_co_u32_e32 v16, vcc, s5, v16
	v_addc_co_u32_e32 v17, vcc, v17, v7, vcc
	global_store_dword v[16:17], v5, off
	v_and_or_b32 v5, v19, s6, v18
	v_cmp_ne_u32_e32 vcc, 0, v5
	v_cndmask_b32_e64 v5, 0, 1, vcc
	v_lshrrev_b32_e32 v7, 8, v19
	v_bfe_u32 v9, v19, 20, 11
	v_mul_f16_sdwa v14, v95, v14 dst_sel:DWORD dst_unused:UNUSED_PAD src0_sel:WORD_1 src1_sel:DWORD
	v_and_or_b32 v5, v7, s7, v5
	v_sub_u32_e32 v11, 0x3f1, v9
	v_fma_f16 v13, v95, v13, -v14
	v_or_b32_e32 v7, 0x1000, v5
	v_med3_i32 v11, v11, 0, 13
	v_cvt_f32_f16_e32 v13, v13
	v_lshrrev_b32_e32 v18, v11, v7
	v_lshlrev_b32_e32 v11, v11, v18
	v_cmp_ne_u32_e32 vcc, v11, v7
	v_cndmask_b32_e64 v7, 0, 1, vcc
	v_add_u32_e32 v9, 0xfffffc10, v9
	v_cvt_f64_f32_e32 v[13:14], v13
	v_or_b32_e32 v7, v18, v7
	v_lshl_or_b32 v11, v9, 12, v5
	v_cmp_gt_i32_e32 vcc, 1, v9
	v_cndmask_b32_e32 v7, v11, v7, vcc
	v_and_b32_e32 v11, 7, v7
	v_cmp_lt_i32_e32 vcc, 5, v11
	v_cmp_eq_u32_e64 s[0:1], 3, v11
	v_mul_f64 v[20:21], v[13:14], s[2:3]
	v_lshrrev_b32_e32 v7, 2, v7
	s_or_b64 vcc, s[0:1], vcc
	v_addc_co_u32_e32 v7, vcc, 0, v7, vcc
	v_cmp_gt_i32_e32 vcc, 31, v9
	v_cndmask_b32_e32 v7, v15, v7, vcc
	v_cmp_ne_u32_e32 vcc, 0, v5
	v_cndmask_b32_e64 v5, 0, 1, vcc
	v_lshl_or_b32 v5, v5, 9, v15
	v_cmp_eq_u32_e32 vcc, s10, v9
	v_cndmask_b32_e32 v5, v7, v5, vcc
	v_lshrrev_b32_e32 v7, 16, v19
	v_and_or_b32 v5, v7, s11, v5
	v_and_or_b32 v7, v21, s6, v20
	v_cmp_ne_u32_e32 vcc, 0, v7
	v_cndmask_b32_e64 v7, 0, 1, vcc
	v_lshrrev_b32_e32 v9, 8, v21
	v_bfe_u32 v11, v21, 20, 11
	v_and_or_b32 v7, v9, s7, v7
	v_sub_u32_e32 v13, 0x3f1, v11
	v_or_b32_e32 v9, 0x1000, v7
	v_med3_i32 v13, v13, 0, 13
	v_lshrrev_b32_e32 v14, v13, v9
	v_lshlrev_b32_e32 v13, v13, v14
	v_cmp_ne_u32_e32 vcc, v13, v9
	v_cndmask_b32_e64 v9, 0, 1, vcc
	v_add_u32_e32 v11, 0xfffffc10, v11
	v_or_b32_e32 v9, v14, v9
	v_lshl_or_b32 v13, v11, 12, v7
	v_cmp_gt_i32_e32 vcc, 1, v11
	v_cndmask_b32_e32 v9, v13, v9, vcc
	v_and_b32_e32 v13, 7, v9
	v_cmp_lt_i32_e32 vcc, 5, v13
	v_cmp_eq_u32_e64 s[0:1], 3, v13
	ds_read2_b32 v[13:14], v97 offset0:112 offset1:212
	v_lshrrev_b32_e32 v9, 2, v9
	s_or_b64 vcc, s[0:1], vcc
	v_addc_co_u32_e32 v9, vcc, 0, v9, vcc
	s_waitcnt lgkmcnt(0)
	v_lshrrev_b32_e32 v20, 16, v13
	v_mul_f16_sdwa v18, v94, v20 dst_sel:DWORD dst_unused:UNUSED_PAD src0_sel:WORD_1 src1_sel:DWORD
	v_fma_f16 v18, v94, v13, v18
	v_cvt_f32_f16_e32 v18, v18
	v_cmp_gt_i32_e32 vcc, 31, v11
	v_cndmask_b32_e32 v9, v15, v9, vcc
	v_cmp_ne_u32_e32 vcc, 0, v7
	v_cvt_f64_f32_e32 v[18:19], v18
	v_cndmask_b32_e64 v7, 0, 1, vcc
	v_lshl_or_b32 v7, v7, 9, v15
	v_cmp_eq_u32_e32 vcc, s10, v11
	v_mul_f64 v[18:19], v[18:19], s[2:3]
	v_cndmask_b32_e32 v7, v9, v7, vcc
	v_lshrrev_b32_e32 v9, 16, v21
	v_and_or_b32 v7, v9, s11, v7
	v_and_b32_e32 v5, 0xffff, v5
	v_lshl_or_b32 v5, v7, 16, v5
	v_mov_b32_e32 v7, s4
	v_add_co_u32_e32 v16, vcc, s5, v16
	v_addc_co_u32_e32 v17, vcc, v17, v7, vcc
	global_store_dword v[16:17], v5, off
	v_and_or_b32 v5, v19, s6, v18
	v_cmp_ne_u32_e32 vcc, 0, v5
	v_cndmask_b32_e64 v5, 0, 1, vcc
	v_lshrrev_b32_e32 v7, 8, v19
	v_bfe_u32 v9, v19, 20, 11
	v_mul_f16_sdwa v13, v94, v13 dst_sel:DWORD dst_unused:UNUSED_PAD src0_sel:WORD_1 src1_sel:DWORD
	v_and_or_b32 v5, v7, s7, v5
	v_sub_u32_e32 v11, 0x3f1, v9
	v_fma_f16 v13, v94, v20, -v13
	v_or_b32_e32 v7, 0x1000, v5
	v_med3_i32 v11, v11, 0, 13
	v_cvt_f32_f16_e32 v13, v13
	v_lshrrev_b32_e32 v18, v11, v7
	v_lshlrev_b32_e32 v11, v11, v18
	v_cmp_ne_u32_e32 vcc, v11, v7
	v_cndmask_b32_e64 v7, 0, 1, vcc
	v_add_u32_e32 v9, 0xfffffc10, v9
	v_cvt_f64_f32_e32 v[20:21], v13
	v_or_b32_e32 v7, v18, v7
	v_lshl_or_b32 v11, v9, 12, v5
	v_cmp_gt_i32_e32 vcc, 1, v9
	v_cndmask_b32_e32 v7, v11, v7, vcc
	v_and_b32_e32 v11, 7, v7
	v_cmp_lt_i32_e32 vcc, 5, v11
	v_cmp_eq_u32_e64 s[0:1], 3, v11
	v_mul_f64 v[20:21], v[20:21], s[2:3]
	v_lshrrev_b32_e32 v7, 2, v7
	s_or_b64 vcc, s[0:1], vcc
	v_addc_co_u32_e32 v7, vcc, 0, v7, vcc
	v_cmp_gt_i32_e32 vcc, 31, v9
	v_cndmask_b32_e32 v7, v15, v7, vcc
	v_cmp_ne_u32_e32 vcc, 0, v5
	v_cndmask_b32_e64 v5, 0, 1, vcc
	v_lshl_or_b32 v5, v5, 9, v15
	v_cmp_eq_u32_e32 vcc, s10, v9
	v_cndmask_b32_e32 v5, v7, v5, vcc
	v_lshrrev_b32_e32 v7, 16, v19
	v_and_or_b32 v5, v7, s11, v5
	v_and_or_b32 v7, v21, s6, v20
	v_cmp_ne_u32_e32 vcc, 0, v7
	v_cndmask_b32_e64 v7, 0, 1, vcc
	v_lshrrev_b32_e32 v9, 8, v21
	v_bfe_u32 v11, v21, 20, 11
	v_and_or_b32 v7, v9, s7, v7
	v_sub_u32_e32 v13, 0x3f1, v11
	v_or_b32_e32 v9, 0x1000, v7
	v_med3_i32 v13, v13, 0, 13
	v_lshrrev_b32_e32 v18, v13, v9
	v_lshlrev_b32_e32 v13, v13, v18
	v_cmp_ne_u32_e32 vcc, v13, v9
	v_cndmask_b32_e64 v9, 0, 1, vcc
	v_add_u32_e32 v11, 0xfffffc10, v11
	v_or_b32_e32 v9, v18, v9
	v_lshl_or_b32 v13, v11, 12, v7
	v_cmp_gt_i32_e32 vcc, 1, v11
	v_cndmask_b32_e32 v9, v13, v9, vcc
	v_and_b32_e32 v13, 7, v9
	v_cmp_lt_i32_e32 vcc, 5, v13
	v_cmp_eq_u32_e64 s[0:1], 3, v13
	v_lshrrev_b32_e32 v13, 16, v0
	v_mul_f16_sdwa v18, v92, v13 dst_sel:DWORD dst_unused:UNUSED_PAD src0_sel:WORD_1 src1_sel:DWORD
	v_fma_f16 v18, v92, v0, v18
	v_cvt_f32_f16_e32 v18, v18
	v_lshrrev_b32_e32 v9, 2, v9
	s_or_b64 vcc, s[0:1], vcc
	v_addc_co_u32_e32 v9, vcc, 0, v9, vcc
	v_cvt_f64_f32_e32 v[18:19], v18
	v_cmp_gt_i32_e32 vcc, 31, v11
	v_cndmask_b32_e32 v9, v15, v9, vcc
	v_cmp_ne_u32_e32 vcc, 0, v7
	v_mul_f64 v[18:19], v[18:19], s[2:3]
	v_cndmask_b32_e64 v7, 0, 1, vcc
	v_lshl_or_b32 v7, v7, 9, v15
	v_cmp_eq_u32_e32 vcc, s10, v11
	v_cndmask_b32_e32 v7, v9, v7, vcc
	v_lshrrev_b32_e32 v9, 16, v21
	v_and_or_b32 v7, v9, s11, v7
	v_and_b32_e32 v5, 0xffff, v5
	v_lshl_or_b32 v5, v7, 16, v5
	v_mov_b32_e32 v7, s4
	v_add_co_u32_e32 v16, vcc, s5, v16
	v_addc_co_u32_e32 v17, vcc, v17, v7, vcc
	global_store_dword v[16:17], v5, off
	v_and_or_b32 v5, v19, s6, v18
	v_cmp_ne_u32_e32 vcc, 0, v5
	v_cndmask_b32_e64 v5, 0, 1, vcc
	v_lshrrev_b32_e32 v7, 8, v19
	v_bfe_u32 v9, v19, 20, 11
	v_mul_f16_sdwa v0, v92, v0 dst_sel:DWORD dst_unused:UNUSED_PAD src0_sel:WORD_1 src1_sel:DWORD
	v_and_or_b32 v5, v7, s7, v5
	v_sub_u32_e32 v11, 0x3f1, v9
	v_fma_f16 v0, v92, v13, -v0
	v_or_b32_e32 v7, 0x1000, v5
	v_med3_i32 v11, v11, 0, 13
	v_cvt_f32_f16_e32 v0, v0
	v_lshrrev_b32_e32 v18, v11, v7
	v_lshlrev_b32_e32 v11, v11, v18
	v_cmp_ne_u32_e32 vcc, v11, v7
	v_cndmask_b32_e64 v7, 0, 1, vcc
	v_add_u32_e32 v9, 0xfffffc10, v9
	v_cvt_f64_f32_e32 v[20:21], v0
	v_or_b32_e32 v7, v18, v7
	v_lshl_or_b32 v11, v9, 12, v5
	v_cmp_gt_i32_e32 vcc, 1, v9
	v_cndmask_b32_e32 v7, v11, v7, vcc
	v_and_b32_e32 v11, 7, v7
	v_cmp_lt_i32_e32 vcc, 5, v11
	v_cmp_eq_u32_e64 s[0:1], 3, v11
	v_mul_f64 v[20:21], v[20:21], s[2:3]
	v_lshrrev_b32_e32 v7, 2, v7
	s_or_b64 vcc, s[0:1], vcc
	v_addc_co_u32_e32 v0, vcc, 0, v7, vcc
	v_cmp_gt_i32_e32 vcc, 31, v9
	v_cndmask_b32_e32 v0, v15, v0, vcc
	v_cmp_ne_u32_e32 vcc, 0, v5
	v_cndmask_b32_e64 v5, 0, 1, vcc
	v_lshl_or_b32 v5, v5, 9, v15
	v_cmp_eq_u32_e32 vcc, s10, v9
	v_cndmask_b32_e32 v0, v0, v5, vcc
	v_lshrrev_b32_e32 v5, 16, v19
	v_and_or_b32 v0, v5, s11, v0
	v_and_or_b32 v5, v21, s6, v20
	v_cmp_ne_u32_e32 vcc, 0, v5
	v_cndmask_b32_e64 v5, 0, 1, vcc
	v_lshrrev_b32_e32 v7, 8, v21
	v_bfe_u32 v9, v21, 20, 11
	v_and_or_b32 v5, v7, s7, v5
	v_sub_u32_e32 v11, 0x3f1, v9
	v_or_b32_e32 v7, 0x1000, v5
	v_med3_i32 v11, v11, 0, 13
	v_lshrrev_b32_e32 v13, v11, v7
	v_lshlrev_b32_e32 v11, v11, v13
	v_cmp_ne_u32_e32 vcc, v11, v7
	v_cndmask_b32_e64 v7, 0, 1, vcc
	v_add_u32_e32 v9, 0xfffffc10, v9
	v_or_b32_e32 v7, v13, v7
	v_lshl_or_b32 v11, v9, 12, v5
	v_cmp_gt_i32_e32 vcc, 1, v9
	v_cndmask_b32_e32 v7, v11, v7, vcc
	v_and_b32_e32 v11, 7, v7
	v_cmp_lt_i32_e32 vcc, 5, v11
	v_cmp_eq_u32_e64 s[0:1], 3, v11
	v_lshrrev_b32_e32 v11, 16, v6
	v_mul_f16_sdwa v13, v91, v11 dst_sel:DWORD dst_unused:UNUSED_PAD src0_sel:WORD_1 src1_sel:DWORD
	v_fma_f16 v13, v91, v6, v13
	v_cvt_f32_f16_e32 v13, v13
	v_lshrrev_b32_e32 v7, 2, v7
	s_or_b64 vcc, s[0:1], vcc
	v_addc_co_u32_e32 v7, vcc, 0, v7, vcc
	v_cvt_f64_f32_e32 v[18:19], v13
	v_cmp_gt_i32_e32 vcc, 31, v9
	v_cndmask_b32_e32 v7, v15, v7, vcc
	v_cmp_ne_u32_e32 vcc, 0, v5
	v_mul_f64 v[18:19], v[18:19], s[2:3]
	v_cndmask_b32_e64 v5, 0, 1, vcc
	v_mad_u64_u32 v[16:17], s[0:1], s8, v93, v[16:17]
	v_lshl_or_b32 v5, v5, 9, v15
	v_cmp_eq_u32_e32 vcc, s10, v9
	v_cndmask_b32_e32 v5, v7, v5, vcc
	v_lshrrev_b32_e32 v7, 16, v21
	v_and_or_b32 v5, v7, s11, v5
	v_and_b32_e32 v0, 0xffff, v0
	v_lshl_or_b32 v0, v5, 16, v0
	v_add_u32_e32 v17, s9, v17
	global_store_dword v[16:17], v0, off
	v_and_or_b32 v0, v19, s6, v18
	v_cmp_ne_u32_e32 vcc, 0, v0
	v_cndmask_b32_e64 v0, 0, 1, vcc
	v_lshrrev_b32_e32 v5, 8, v19
	v_bfe_u32 v7, v19, 20, 11
	v_and_or_b32 v0, v5, s7, v0
	v_sub_u32_e32 v9, 0x3f1, v7
	v_or_b32_e32 v5, 0x1000, v0
	v_med3_i32 v9, v9, 0, 13
	v_lshrrev_b32_e32 v13, v9, v5
	v_lshlrev_b32_e32 v9, v9, v13
	v_mul_f16_sdwa v6, v91, v6 dst_sel:DWORD dst_unused:UNUSED_PAD src0_sel:WORD_1 src1_sel:DWORD
	v_cmp_ne_u32_e32 vcc, v9, v5
	v_fma_f16 v6, v91, v11, -v6
	v_cndmask_b32_e64 v5, 0, 1, vcc
	v_add_u32_e32 v7, 0xfffffc10, v7
	v_cvt_f32_f16_e32 v6, v6
	v_or_b32_e32 v5, v13, v5
	v_lshl_or_b32 v9, v7, 12, v0
	v_cmp_gt_i32_e32 vcc, 1, v7
	v_cndmask_b32_e32 v5, v9, v5, vcc
	v_and_b32_e32 v9, 7, v5
	v_cmp_lt_i32_e32 vcc, 5, v9
	v_cmp_eq_u32_e64 s[0:1], 3, v9
	v_lshrrev_b32_e32 v9, 2, v5
	v_cvt_f64_f32_e32 v[5:6], v6
	s_or_b64 vcc, s[0:1], vcc
	v_addc_co_u32_e32 v9, vcc, 0, v9, vcc
	v_mul_f64 v[5:6], v[5:6], s[2:3]
	v_cmp_gt_i32_e32 vcc, 31, v7
	v_cndmask_b32_e32 v9, v15, v9, vcc
	v_cmp_ne_u32_e32 vcc, 0, v0
	v_cndmask_b32_e64 v0, 0, 1, vcc
	v_lshl_or_b32 v0, v0, 9, v15
	v_cmp_eq_u32_e32 vcc, s10, v7
	v_cndmask_b32_e32 v0, v9, v0, vcc
	v_and_or_b32 v5, v6, s6, v5
	v_lshrrev_b32_e32 v7, 16, v19
	v_cmp_ne_u32_e32 vcc, 0, v5
	v_and_or_b32 v0, v7, s11, v0
	v_cndmask_b32_e64 v5, 0, 1, vcc
	v_lshrrev_b32_e32 v7, 8, v6
	v_bfe_u32 v9, v6, 20, 11
	v_and_or_b32 v5, v7, s7, v5
	v_sub_u32_e32 v11, 0x3f1, v9
	v_or_b32_e32 v7, 0x1000, v5
	v_med3_i32 v11, v11, 0, 13
	v_lshrrev_b32_e32 v13, v11, v7
	v_lshlrev_b32_e32 v11, v11, v13
	v_cmp_ne_u32_e32 vcc, v11, v7
	v_cndmask_b32_e64 v7, 0, 1, vcc
	v_add_u32_e32 v9, 0xfffffc10, v9
	v_or_b32_e32 v7, v13, v7
	v_lshl_or_b32 v11, v9, 12, v5
	v_cmp_gt_i32_e32 vcc, 1, v9
	v_cndmask_b32_e32 v7, v11, v7, vcc
	v_and_b32_e32 v11, 7, v7
	v_cmp_lt_i32_e32 vcc, 5, v11
	v_cmp_eq_u32_e64 s[0:1], 3, v11
	v_lshrrev_b32_e32 v11, 16, v1
	v_mul_f16_sdwa v13, v90, v11 dst_sel:DWORD dst_unused:UNUSED_PAD src0_sel:WORD_1 src1_sel:DWORD
	v_fma_f16 v13, v90, v1, v13
	v_cvt_f32_f16_e32 v13, v13
	v_lshrrev_b32_e32 v7, 2, v7
	s_or_b64 vcc, s[0:1], vcc
	v_addc_co_u32_e32 v7, vcc, 0, v7, vcc
	v_cmp_gt_i32_e32 vcc, 31, v9
	v_cndmask_b32_e32 v7, v15, v7, vcc
	v_cmp_ne_u32_e32 vcc, 0, v5
	v_cvt_f64_f32_e32 v[18:19], v13
	v_cndmask_b32_e64 v5, 0, 1, vcc
	v_lshl_or_b32 v5, v5, 9, v15
	v_cmp_eq_u32_e32 vcc, s10, v9
	v_cndmask_b32_e32 v5, v7, v5, vcc
	v_lshrrev_b32_e32 v6, 16, v6
	v_and_or_b32 v7, v6, s11, v5
	v_mul_f64 v[5:6], v[18:19], s[2:3]
	v_and_b32_e32 v0, 0xffff, v0
	v_lshl_or_b32 v0, v7, 16, v0
	v_mov_b32_e32 v7, s4
	v_add_co_u32_e32 v16, vcc, s5, v16
	v_addc_co_u32_e32 v17, vcc, v17, v7, vcc
	global_store_dword v[16:17], v0, off
	v_and_or_b32 v0, v6, s6, v5
	v_cmp_ne_u32_e32 vcc, 0, v0
	v_cndmask_b32_e64 v0, 0, 1, vcc
	v_lshrrev_b32_e32 v5, 8, v6
	v_bfe_u32 v7, v6, 20, 11
	v_and_or_b32 v5, v5, s7, v0
	v_sub_u32_e32 v9, 0x3f1, v7
	v_or_b32_e32 v0, 0x1000, v5
	v_med3_i32 v9, v9, 0, 13
	v_lshrrev_b32_e32 v13, v9, v0
	v_lshlrev_b32_e32 v9, v9, v13
	v_mul_f16_sdwa v1, v90, v1 dst_sel:DWORD dst_unused:UNUSED_PAD src0_sel:WORD_1 src1_sel:DWORD
	v_cmp_ne_u32_e32 vcc, v9, v0
	v_fma_f16 v1, v90, v11, -v1
	v_cndmask_b32_e64 v0, 0, 1, vcc
	v_add_u32_e32 v7, 0xfffffc10, v7
	v_cvt_f32_f16_e32 v1, v1
	v_or_b32_e32 v0, v13, v0
	v_lshl_or_b32 v9, v7, 12, v5
	v_cmp_gt_i32_e32 vcc, 1, v7
	v_cndmask_b32_e32 v0, v9, v0, vcc
	v_and_b32_e32 v9, 7, v0
	v_cmp_lt_i32_e32 vcc, 5, v9
	v_cmp_eq_u32_e64 s[0:1], 3, v9
	v_lshrrev_b32_e32 v9, 2, v0
	v_cvt_f64_f32_e32 v[0:1], v1
	s_or_b64 vcc, s[0:1], vcc
	v_addc_co_u32_e32 v9, vcc, 0, v9, vcc
	v_mul_f64 v[0:1], v[0:1], s[2:3]
	v_cmp_gt_i32_e32 vcc, 31, v7
	v_cndmask_b32_e32 v9, v15, v9, vcc
	v_cmp_ne_u32_e32 vcc, 0, v5
	v_cndmask_b32_e64 v5, 0, 1, vcc
	v_lshl_or_b32 v5, v5, 9, v15
	v_cmp_eq_u32_e32 vcc, s10, v7
	v_cndmask_b32_e32 v5, v9, v5, vcc
	v_and_or_b32 v0, v1, s6, v0
	v_lshrrev_b32_e32 v6, 16, v6
	v_cmp_ne_u32_e32 vcc, 0, v0
	v_and_or_b32 v7, v6, s11, v5
	v_cndmask_b32_e64 v0, 0, 1, vcc
	v_lshrrev_b32_e32 v5, 8, v1
	v_bfe_u32 v6, v1, 20, 11
	v_and_or_b32 v0, v5, s7, v0
	v_sub_u32_e32 v9, 0x3f1, v6
	v_or_b32_e32 v5, 0x1000, v0
	v_med3_i32 v9, v9, 0, 13
	v_lshrrev_b32_e32 v11, v9, v5
	v_lshlrev_b32_e32 v9, v9, v11
	v_cmp_ne_u32_e32 vcc, v9, v5
	v_cndmask_b32_e64 v5, 0, 1, vcc
	v_add_u32_e32 v6, 0xfffffc10, v6
	v_or_b32_e32 v5, v11, v5
	v_lshl_or_b32 v9, v6, 12, v0
	v_cmp_gt_i32_e32 vcc, 1, v6
	v_cndmask_b32_e32 v5, v9, v5, vcc
	v_and_b32_e32 v9, 7, v5
	v_cmp_lt_i32_e32 vcc, 5, v9
	v_cmp_eq_u32_e64 s[0:1], 3, v9
	v_lshrrev_b32_e32 v9, 16, v8
	v_lshrrev_b32_e32 v5, 2, v5
	s_or_b64 vcc, s[0:1], vcc
	v_mul_f16_sdwa v11, v89, v9 dst_sel:DWORD dst_unused:UNUSED_PAD src0_sel:WORD_1 src1_sel:DWORD
	v_addc_co_u32_e32 v5, vcc, 0, v5, vcc
	v_fma_f16 v11, v89, v8, v11
	v_cmp_gt_i32_e32 vcc, 31, v6
	v_cvt_f32_f16_e32 v11, v11
	v_cndmask_b32_e32 v5, v15, v5, vcc
	v_cmp_ne_u32_e32 vcc, 0, v0
	v_cndmask_b32_e64 v0, 0, 1, vcc
	v_lshl_or_b32 v0, v0, 9, v15
	v_cmp_eq_u32_e32 vcc, s10, v6
	v_cndmask_b32_e32 v0, v5, v0, vcc
	v_cvt_f64_f32_e32 v[5:6], v11
	v_lshrrev_b32_e32 v1, 16, v1
	v_and_or_b32 v11, v1, s11, v0
	v_and_b32_e32 v7, 0xffff, v7
	v_mul_f64 v[0:1], v[5:6], s[2:3]
	v_mov_b32_e32 v6, s4
	v_add_co_u32_e32 v5, vcc, s5, v16
	v_addc_co_u32_e32 v6, vcc, v17, v6, vcc
	v_lshl_or_b32 v7, v11, 16, v7
	global_store_dword v[5:6], v7, off
	v_and_or_b32 v0, v1, s6, v0
	v_cmp_ne_u32_e32 vcc, 0, v0
	v_cndmask_b32_e64 v0, 0, 1, vcc
	v_lshrrev_b32_e32 v7, 8, v1
	v_bfe_u32 v11, v1, 20, 11
	v_and_or_b32 v0, v7, s7, v0
	v_sub_u32_e32 v13, 0x3f1, v11
	v_or_b32_e32 v7, 0x1000, v0
	v_med3_i32 v13, v13, 0, 13
	v_lshrrev_b32_e32 v16, v13, v7
	v_mul_f16_sdwa v8, v89, v8 dst_sel:DWORD dst_unused:UNUSED_PAD src0_sel:WORD_1 src1_sel:DWORD
	v_lshlrev_b32_e32 v13, v13, v16
	v_fma_f16 v8, v89, v9, -v8
	v_cmp_ne_u32_e32 vcc, v13, v7
	v_cvt_f32_f16_e32 v8, v8
	v_cndmask_b32_e64 v7, 0, 1, vcc
	v_add_u32_e32 v11, 0xfffffc10, v11
	v_or_b32_e32 v7, v16, v7
	v_lshl_or_b32 v13, v11, 12, v0
	v_cmp_gt_i32_e32 vcc, 1, v11
	v_cndmask_b32_e32 v7, v13, v7, vcc
	v_and_b32_e32 v13, 7, v7
	v_lshrrev_b32_e32 v9, 2, v7
	v_cvt_f64_f32_e32 v[7:8], v8
	v_cmp_lt_i32_e32 vcc, 5, v13
	v_cmp_eq_u32_e64 s[0:1], 3, v13
	s_or_b64 vcc, s[0:1], vcc
	v_mul_f64 v[7:8], v[7:8], s[2:3]
	v_addc_co_u32_e32 v9, vcc, 0, v9, vcc
	v_cmp_gt_i32_e32 vcc, 31, v11
	v_cndmask_b32_e32 v9, v15, v9, vcc
	v_cmp_ne_u32_e32 vcc, 0, v0
	v_cndmask_b32_e64 v0, 0, 1, vcc
	v_lshl_or_b32 v0, v0, 9, v15
	v_cmp_eq_u32_e32 vcc, s10, v11
	v_cndmask_b32_e32 v0, v9, v0, vcc
	v_lshrrev_b32_e32 v1, 16, v1
	v_and_or_b32 v9, v1, s11, v0
	v_and_or_b32 v0, v8, s6, v7
	v_cmp_ne_u32_e32 vcc, 0, v0
	v_cndmask_b32_e64 v0, 0, 1, vcc
	v_lshrrev_b32_e32 v1, 8, v8
	v_bfe_u32 v7, v8, 20, 11
	v_and_or_b32 v0, v1, s7, v0
	v_sub_u32_e32 v11, 0x3f1, v7
	v_or_b32_e32 v1, 0x1000, v0
	v_med3_i32 v11, v11, 0, 13
	v_lshrrev_b32_e32 v13, v11, v1
	v_lshlrev_b32_e32 v11, v11, v13
	v_cmp_ne_u32_e32 vcc, v11, v1
	v_cndmask_b32_e64 v1, 0, 1, vcc
	v_add_u32_e32 v7, 0xfffffc10, v7
	v_or_b32_e32 v1, v13, v1
	v_lshl_or_b32 v11, v7, 12, v0
	v_cmp_gt_i32_e32 vcc, 1, v7
	v_cndmask_b32_e32 v1, v11, v1, vcc
	v_and_b32_e32 v11, 7, v1
	v_cmp_lt_i32_e32 vcc, 5, v11
	v_cmp_eq_u32_e64 s[0:1], 3, v11
	v_lshrrev_b32_e32 v11, 16, v2
	v_lshrrev_b32_e32 v1, 2, v1
	s_or_b64 vcc, s[0:1], vcc
	v_mul_f16_sdwa v13, v88, v11 dst_sel:DWORD dst_unused:UNUSED_PAD src0_sel:WORD_1 src1_sel:DWORD
	v_addc_co_u32_e32 v1, vcc, 0, v1, vcc
	v_fma_f16 v13, v88, v2, v13
	v_cmp_gt_i32_e32 vcc, 31, v7
	v_cvt_f32_f16_e32 v13, v13
	v_cndmask_b32_e32 v1, v15, v1, vcc
	v_cmp_ne_u32_e32 vcc, 0, v0
	v_cndmask_b32_e64 v0, 0, 1, vcc
	v_lshl_or_b32 v0, v0, 9, v15
	v_cmp_eq_u32_e32 vcc, s10, v7
	v_cndmask_b32_e32 v7, v1, v0, vcc
	v_cvt_f64_f32_e32 v[0:1], v13
	v_lshrrev_b32_e32 v8, 16, v8
	v_and_or_b32 v7, v8, s11, v7
	v_and_b32_e32 v8, 0xffff, v9
	v_mul_f64 v[0:1], v[0:1], s[2:3]
	v_lshl_or_b32 v7, v7, 16, v8
	v_mov_b32_e32 v8, s4
	v_add_co_u32_e32 v5, vcc, s5, v5
	v_addc_co_u32_e32 v6, vcc, v6, v8, vcc
	global_store_dword v[5:6], v7, off
	v_and_or_b32 v0, v1, s6, v0
	v_cmp_ne_u32_e32 vcc, 0, v0
	v_cndmask_b32_e64 v0, 0, 1, vcc
	v_lshrrev_b32_e32 v7, 8, v1
	v_bfe_u32 v8, v1, 20, 11
	v_and_or_b32 v0, v7, s7, v0
	v_sub_u32_e32 v9, 0x3f1, v8
	v_or_b32_e32 v7, 0x1000, v0
	v_med3_i32 v9, v9, 0, 13
	v_lshrrev_b32_e32 v13, v9, v7
	v_lshlrev_b32_e32 v9, v9, v13
	v_mul_f16_sdwa v2, v88, v2 dst_sel:DWORD dst_unused:UNUSED_PAD src0_sel:WORD_1 src1_sel:DWORD
	v_cmp_ne_u32_e32 vcc, v9, v7
	v_fma_f16 v2, v88, v11, -v2
	v_cndmask_b32_e64 v7, 0, 1, vcc
	v_add_u32_e32 v9, 0xfffffc10, v8
	v_cvt_f32_f16_e32 v2, v2
	v_or_b32_e32 v7, v13, v7
	v_lshl_or_b32 v8, v9, 12, v0
	v_cmp_gt_i32_e32 vcc, 1, v9
	v_cndmask_b32_e32 v7, v8, v7, vcc
	v_and_b32_e32 v8, 7, v7
	v_cmp_lt_i32_e32 vcc, 5, v8
	v_cmp_eq_u32_e64 s[0:1], 3, v8
	v_lshrrev_b32_e32 v11, 2, v7
	v_cvt_f64_f32_e32 v[7:8], v2
	s_or_b64 vcc, s[0:1], vcc
	v_addc_co_u32_e32 v2, vcc, 0, v11, vcc
	v_mul_f64 v[7:8], v[7:8], s[2:3]
	v_cmp_gt_i32_e32 vcc, 31, v9
	v_cndmask_b32_e32 v2, v15, v2, vcc
	v_cmp_ne_u32_e32 vcc, 0, v0
	v_cndmask_b32_e64 v0, 0, 1, vcc
	v_lshl_or_b32 v0, v0, 9, v15
	v_cmp_eq_u32_e32 vcc, s10, v9
	v_cndmask_b32_e32 v0, v2, v0, vcc
	v_lshrrev_b32_e32 v1, 16, v1
	v_and_or_b32 v2, v1, s11, v0
	v_and_or_b32 v0, v8, s6, v7
	v_cmp_ne_u32_e32 vcc, 0, v0
	v_cndmask_b32_e64 v0, 0, 1, vcc
	v_lshrrev_b32_e32 v1, 8, v8
	v_bfe_u32 v7, v8, 20, 11
	v_and_or_b32 v0, v1, s7, v0
	v_sub_u32_e32 v9, 0x3f1, v7
	v_or_b32_e32 v1, 0x1000, v0
	v_med3_i32 v9, v9, 0, 13
	v_lshrrev_b32_e32 v11, v9, v1
	v_lshlrev_b32_e32 v9, v9, v11
	v_cmp_ne_u32_e32 vcc, v9, v1
	v_cndmask_b32_e64 v1, 0, 1, vcc
	v_add_u32_e32 v7, 0xfffffc10, v7
	v_or_b32_e32 v1, v11, v1
	v_lshl_or_b32 v9, v7, 12, v0
	v_cmp_gt_i32_e32 vcc, 1, v7
	v_cndmask_b32_e32 v1, v9, v1, vcc
	v_and_b32_e32 v9, 7, v1
	v_cmp_lt_i32_e32 vcc, 5, v9
	v_cmp_eq_u32_e64 s[0:1], 3, v9
	v_lshrrev_b32_e32 v9, 16, v10
	v_lshrrev_b32_e32 v1, 2, v1
	s_or_b64 vcc, s[0:1], vcc
	v_mul_f16_sdwa v11, v86, v9 dst_sel:DWORD dst_unused:UNUSED_PAD src0_sel:WORD_1 src1_sel:DWORD
	v_addc_co_u32_e32 v1, vcc, 0, v1, vcc
	v_fma_f16 v11, v86, v10, v11
	v_cmp_gt_i32_e32 vcc, 31, v7
	v_cvt_f32_f16_e32 v11, v11
	v_cndmask_b32_e32 v1, v15, v1, vcc
	v_cmp_ne_u32_e32 vcc, 0, v0
	v_cndmask_b32_e64 v0, 0, 1, vcc
	v_lshl_or_b32 v0, v0, 9, v15
	v_cmp_eq_u32_e32 vcc, s10, v7
	v_cndmask_b32_e32 v7, v1, v0, vcc
	v_cvt_f64_f32_e32 v[0:1], v11
	v_lshrrev_b32_e32 v8, 16, v8
	v_and_or_b32 v7, v8, s11, v7
	v_and_b32_e32 v2, 0xffff, v2
	v_mul_f64 v[0:1], v[0:1], s[2:3]
	v_lshl_or_b32 v2, v7, 16, v2
	v_mov_b32_e32 v7, s4
	v_add_co_u32_e32 v5, vcc, s5, v5
	v_addc_co_u32_e32 v6, vcc, v6, v7, vcc
	global_store_dword v[5:6], v2, off
	v_and_or_b32 v0, v1, s6, v0
	v_cmp_ne_u32_e32 vcc, 0, v0
	v_cndmask_b32_e64 v0, 0, 1, vcc
	v_lshrrev_b32_e32 v2, 8, v1
	v_bfe_u32 v7, v1, 20, 11
	v_and_or_b32 v0, v2, s7, v0
	v_sub_u32_e32 v8, 0x3f1, v7
	v_or_b32_e32 v2, 0x1000, v0
	v_med3_i32 v8, v8, 0, 13
	v_lshrrev_b32_e32 v11, v8, v2
	v_lshlrev_b32_e32 v8, v8, v11
	v_cmp_ne_u32_e32 vcc, v8, v2
	v_mul_f16_sdwa v8, v86, v10 dst_sel:DWORD dst_unused:UNUSED_PAD src0_sel:WORD_1 src1_sel:DWORD
	v_cndmask_b32_e64 v2, 0, 1, vcc
	v_fma_f16 v8, v86, v9, -v8
	v_or_b32_e32 v2, v11, v2
	v_add_u32_e32 v11, 0xfffffc10, v7
	v_cvt_f32_f16_e32 v8, v8
	v_lshl_or_b32 v7, v11, 12, v0
	v_cmp_gt_i32_e32 vcc, 1, v11
	v_cndmask_b32_e32 v2, v7, v2, vcc
	v_and_b32_e32 v7, 7, v2
	v_cmp_lt_i32_e32 vcc, 5, v7
	v_cmp_eq_u32_e64 s[0:1], 3, v7
	v_cvt_f64_f32_e32 v[7:8], v8
	v_lshrrev_b32_e32 v2, 2, v2
	s_or_b64 vcc, s[0:1], vcc
	v_addc_co_u32_e32 v2, vcc, 0, v2, vcc
	v_mul_f64 v[7:8], v[7:8], s[2:3]
	v_cmp_gt_i32_e32 vcc, 31, v11
	v_cndmask_b32_e32 v2, v15, v2, vcc
	v_cmp_ne_u32_e32 vcc, 0, v0
	v_cndmask_b32_e64 v0, 0, 1, vcc
	v_lshl_or_b32 v0, v0, 9, v15
	v_cmp_eq_u32_e32 vcc, s10, v11
	v_cndmask_b32_e32 v0, v2, v0, vcc
	v_lshrrev_b32_e32 v1, 16, v1
	v_and_or_b32 v2, v1, s11, v0
	v_and_or_b32 v0, v8, s6, v7
	v_cmp_ne_u32_e32 vcc, 0, v0
	v_cndmask_b32_e64 v0, 0, 1, vcc
	v_lshrrev_b32_e32 v1, 8, v8
	v_bfe_u32 v7, v8, 20, 11
	v_and_or_b32 v0, v1, s7, v0
	v_sub_u32_e32 v9, 0x3f1, v7
	v_or_b32_e32 v1, 0x1000, v0
	v_med3_i32 v9, v9, 0, 13
	v_lshrrev_b32_e32 v10, v9, v1
	v_lshlrev_b32_e32 v9, v9, v10
	v_cmp_ne_u32_e32 vcc, v9, v1
	v_cndmask_b32_e64 v1, 0, 1, vcc
	v_add_u32_e32 v7, 0xfffffc10, v7
	v_or_b32_e32 v1, v10, v1
	v_lshl_or_b32 v9, v7, 12, v0
	v_cmp_gt_i32_e32 vcc, 1, v7
	v_cndmask_b32_e32 v1, v9, v1, vcc
	v_and_b32_e32 v9, 7, v1
	v_cmp_lt_i32_e32 vcc, 5, v9
	v_cmp_eq_u32_e64 s[0:1], 3, v9
	v_lshrrev_b32_e32 v9, 16, v3
	v_lshrrev_b32_e32 v1, 2, v1
	s_or_b64 vcc, s[0:1], vcc
	v_mul_f16_sdwa v10, v87, v9 dst_sel:DWORD dst_unused:UNUSED_PAD src0_sel:WORD_1 src1_sel:DWORD
	v_addc_co_u32_e32 v1, vcc, 0, v1, vcc
	v_fma_f16 v10, v87, v3, v10
	v_cmp_gt_i32_e32 vcc, 31, v7
	v_cvt_f32_f16_e32 v10, v10
	v_cndmask_b32_e32 v1, v15, v1, vcc
	v_cmp_ne_u32_e32 vcc, 0, v0
	v_cndmask_b32_e64 v0, 0, 1, vcc
	v_lshl_or_b32 v0, v0, 9, v15
	v_cmp_eq_u32_e32 vcc, s10, v7
	v_cndmask_b32_e32 v7, v1, v0, vcc
	v_cvt_f64_f32_e32 v[0:1], v10
	v_lshrrev_b32_e32 v8, 16, v8
	v_and_or_b32 v7, v8, s11, v7
	v_and_b32_e32 v2, 0xffff, v2
	v_mul_f64 v[0:1], v[0:1], s[2:3]
	v_lshl_or_b32 v2, v7, 16, v2
	v_mov_b32_e32 v7, s4
	v_add_co_u32_e32 v5, vcc, s5, v5
	v_addc_co_u32_e32 v6, vcc, v6, v7, vcc
	global_store_dword v[5:6], v2, off
	v_and_or_b32 v0, v1, s6, v0
	v_cmp_ne_u32_e32 vcc, 0, v0
	v_cndmask_b32_e64 v0, 0, 1, vcc
	v_lshrrev_b32_e32 v2, 8, v1
	v_bfe_u32 v7, v1, 20, 11
	v_and_or_b32 v0, v2, s7, v0
	v_sub_u32_e32 v8, 0x3f1, v7
	v_or_b32_e32 v2, 0x1000, v0
	v_med3_i32 v8, v8, 0, 13
	v_lshrrev_b32_e32 v10, v8, v2
	v_lshlrev_b32_e32 v8, v8, v10
	v_mul_f16_sdwa v3, v87, v3 dst_sel:DWORD dst_unused:UNUSED_PAD src0_sel:WORD_1 src1_sel:DWORD
	v_cmp_ne_u32_e32 vcc, v8, v2
	v_fma_f16 v3, v87, v9, -v3
	v_cndmask_b32_e64 v2, 0, 1, vcc
	v_add_u32_e32 v7, 0xfffffc10, v7
	v_cvt_f32_f16_e32 v3, v3
	v_or_b32_e32 v2, v10, v2
	v_lshl_or_b32 v8, v7, 12, v0
	v_cmp_gt_i32_e32 vcc, 1, v7
	v_cndmask_b32_e32 v2, v8, v2, vcc
	v_and_b32_e32 v8, 7, v2
	v_cmp_lt_i32_e32 vcc, 5, v8
	v_cmp_eq_u32_e64 s[0:1], 3, v8
	v_lshrrev_b32_e32 v8, 2, v2
	v_cvt_f64_f32_e32 v[2:3], v3
	s_or_b64 vcc, s[0:1], vcc
	v_addc_co_u32_e32 v8, vcc, 0, v8, vcc
	v_mul_f64 v[2:3], v[2:3], s[2:3]
	v_cmp_gt_i32_e32 vcc, 31, v7
	v_cndmask_b32_e32 v8, v15, v8, vcc
	v_cmp_ne_u32_e32 vcc, 0, v0
	v_cndmask_b32_e64 v0, 0, 1, vcc
	v_lshl_or_b32 v0, v0, 9, v15
	v_cmp_eq_u32_e32 vcc, s10, v7
	v_cndmask_b32_e32 v0, v8, v0, vcc
	v_lshrrev_b32_e32 v1, 16, v1
	v_and_or_b32 v7, v1, s11, v0
	v_and_or_b32 v0, v3, s6, v2
	v_cmp_ne_u32_e32 vcc, 0, v0
	v_cndmask_b32_e64 v0, 0, 1, vcc
	v_lshrrev_b32_e32 v1, 8, v3
	v_bfe_u32 v2, v3, 20, 11
	v_and_or_b32 v0, v1, s7, v0
	v_sub_u32_e32 v8, 0x3f1, v2
	v_or_b32_e32 v1, 0x1000, v0
	v_med3_i32 v8, v8, 0, 13
	v_lshrrev_b32_e32 v9, v8, v1
	v_lshlrev_b32_e32 v8, v8, v9
	v_cmp_ne_u32_e32 vcc, v8, v1
	v_cndmask_b32_e64 v1, 0, 1, vcc
	v_add_u32_e32 v2, 0xfffffc10, v2
	v_or_b32_e32 v1, v9, v1
	v_lshl_or_b32 v8, v2, 12, v0
	v_cmp_gt_i32_e32 vcc, 1, v2
	v_cndmask_b32_e32 v1, v8, v1, vcc
	v_and_b32_e32 v8, 7, v1
	v_cmp_lt_i32_e32 vcc, 5, v8
	v_cmp_eq_u32_e64 s[0:1], 3, v8
	v_lshrrev_b32_e32 v8, 16, v12
	v_lshrrev_b32_e32 v1, 2, v1
	s_or_b64 vcc, s[0:1], vcc
	v_mul_f16_sdwa v9, v85, v8 dst_sel:DWORD dst_unused:UNUSED_PAD src0_sel:WORD_1 src1_sel:DWORD
	v_addc_co_u32_e32 v1, vcc, 0, v1, vcc
	v_fma_f16 v9, v85, v12, v9
	v_cmp_gt_i32_e32 vcc, 31, v2
	v_cvt_f32_f16_e32 v9, v9
	v_cndmask_b32_e32 v1, v15, v1, vcc
	v_cmp_ne_u32_e32 vcc, 0, v0
	v_cndmask_b32_e64 v0, 0, 1, vcc
	v_lshl_or_b32 v0, v0, 9, v15
	v_cmp_eq_u32_e32 vcc, s10, v2
	v_cndmask_b32_e32 v2, v1, v0, vcc
	v_cvt_f64_f32_e32 v[0:1], v9
	v_lshrrev_b32_e32 v3, 16, v3
	v_and_or_b32 v2, v3, s11, v2
	v_and_b32_e32 v3, 0xffff, v7
	v_mul_f64 v[0:1], v[0:1], s[2:3]
	v_lshl_or_b32 v7, v2, 16, v3
	v_mov_b32_e32 v3, s4
	v_add_co_u32_e32 v2, vcc, s5, v5
	v_addc_co_u32_e32 v3, vcc, v6, v3, vcc
	global_store_dword v[2:3], v7, off
	v_and_or_b32 v0, v1, s6, v0
	v_cmp_ne_u32_e32 vcc, 0, v0
	v_cndmask_b32_e64 v0, 0, 1, vcc
	v_lshrrev_b32_e32 v5, 8, v1
	v_bfe_u32 v6, v1, 20, 11
	v_and_or_b32 v0, v5, s7, v0
	v_sub_u32_e32 v7, 0x3f1, v6
	v_or_b32_e32 v5, 0x1000, v0
	v_med3_i32 v7, v7, 0, 13
	v_lshrrev_b32_e32 v9, v7, v5
	v_lshlrev_b32_e32 v7, v7, v9
	v_cmp_ne_u32_e32 vcc, v7, v5
	v_cndmask_b32_e64 v5, 0, 1, vcc
	v_or_b32_e32 v5, v9, v5
	v_mul_f16_sdwa v9, v85, v12 dst_sel:DWORD dst_unused:UNUSED_PAD src0_sel:WORD_1 src1_sel:DWORD
	v_fma_f16 v8, v85, v8, -v9
	v_add_u32_e32 v7, 0xfffffc10, v6
	v_cvt_f32_f16_e32 v8, v8
	v_lshl_or_b32 v6, v7, 12, v0
	v_cmp_gt_i32_e32 vcc, 1, v7
	v_cndmask_b32_e32 v5, v6, v5, vcc
	v_and_b32_e32 v6, 7, v5
	v_cmp_lt_i32_e32 vcc, 5, v6
	v_cmp_eq_u32_e64 s[0:1], 3, v6
	v_lshrrev_b32_e32 v9, 2, v5
	v_cvt_f64_f32_e32 v[5:6], v8
	s_or_b64 vcc, s[0:1], vcc
	v_addc_co_u32_e32 v8, vcc, 0, v9, vcc
	v_mul_f64 v[5:6], v[5:6], s[2:3]
	v_cmp_gt_i32_e32 vcc, 31, v7
	v_cndmask_b32_e32 v8, v15, v8, vcc
	v_cmp_ne_u32_e32 vcc, 0, v0
	v_cndmask_b32_e64 v0, 0, 1, vcc
	v_lshl_or_b32 v0, v0, 9, v15
	v_cmp_eq_u32_e32 vcc, s10, v7
	v_cndmask_b32_e32 v0, v8, v0, vcc
	v_lshrrev_b32_e32 v1, 16, v1
	v_and_or_b32 v7, v1, s11, v0
	v_and_or_b32 v0, v6, s6, v5
	v_cmp_ne_u32_e32 vcc, 0, v0
	v_cndmask_b32_e64 v0, 0, 1, vcc
	v_lshrrev_b32_e32 v1, 8, v6
	v_bfe_u32 v5, v6, 20, 11
	v_and_or_b32 v0, v1, s7, v0
	v_sub_u32_e32 v8, 0x3f1, v5
	v_or_b32_e32 v1, 0x1000, v0
	v_med3_i32 v8, v8, 0, 13
	v_lshrrev_b32_e32 v9, v8, v1
	v_lshlrev_b32_e32 v8, v8, v9
	v_cmp_ne_u32_e32 vcc, v8, v1
	v_cndmask_b32_e64 v1, 0, 1, vcc
	v_add_u32_e32 v5, 0xfffffc10, v5
	v_or_b32_e32 v1, v9, v1
	v_lshl_or_b32 v8, v5, 12, v0
	v_cmp_gt_i32_e32 vcc, 1, v5
	v_cndmask_b32_e32 v1, v8, v1, vcc
	v_and_b32_e32 v8, 7, v1
	v_cmp_lt_i32_e32 vcc, 5, v8
	v_cmp_eq_u32_e64 s[0:1], 3, v8
	v_lshrrev_b32_e32 v8, 16, v4
	v_lshrrev_b32_e32 v1, 2, v1
	s_or_b64 vcc, s[0:1], vcc
	v_mul_f16_sdwa v9, v83, v8 dst_sel:DWORD dst_unused:UNUSED_PAD src0_sel:WORD_1 src1_sel:DWORD
	v_addc_co_u32_e32 v1, vcc, 0, v1, vcc
	v_fma_f16 v9, v83, v4, v9
	v_cmp_gt_i32_e32 vcc, 31, v5
	v_cvt_f32_f16_e32 v9, v9
	v_cndmask_b32_e32 v1, v15, v1, vcc
	v_cmp_ne_u32_e32 vcc, 0, v0
	v_cndmask_b32_e64 v0, 0, 1, vcc
	v_lshl_or_b32 v0, v0, 9, v15
	v_cmp_eq_u32_e32 vcc, s10, v5
	v_cndmask_b32_e32 v5, v1, v0, vcc
	v_cvt_f64_f32_e32 v[0:1], v9
	v_lshrrev_b32_e32 v6, 16, v6
	v_and_or_b32 v5, v6, s11, v5
	v_and_b32_e32 v6, 0xffff, v7
	v_mul_f64 v[0:1], v[0:1], s[2:3]
	v_lshl_or_b32 v5, v5, 16, v6
	v_mov_b32_e32 v6, s4
	v_add_co_u32_e32 v2, vcc, s5, v2
	v_addc_co_u32_e32 v3, vcc, v3, v6, vcc
	global_store_dword v[2:3], v5, off
	v_and_or_b32 v0, v1, s6, v0
	v_cmp_ne_u32_e32 vcc, 0, v0
	v_cndmask_b32_e64 v0, 0, 1, vcc
	v_lshrrev_b32_e32 v5, 8, v1
	v_bfe_u32 v6, v1, 20, 11
	v_and_or_b32 v0, v5, s7, v0
	v_sub_u32_e32 v7, 0x3f1, v6
	v_or_b32_e32 v5, 0x1000, v0
	v_med3_i32 v7, v7, 0, 13
	v_lshrrev_b32_e32 v9, v7, v5
	v_lshlrev_b32_e32 v7, v7, v9
	v_mul_f16_sdwa v4, v83, v4 dst_sel:DWORD dst_unused:UNUSED_PAD src0_sel:WORD_1 src1_sel:DWORD
	v_cmp_ne_u32_e32 vcc, v7, v5
	v_fma_f16 v4, v83, v8, -v4
	v_cndmask_b32_e64 v5, 0, 1, vcc
	v_add_u32_e32 v6, 0xfffffc10, v6
	v_cvt_f32_f16_e32 v4, v4
	v_or_b32_e32 v5, v9, v5
	v_lshl_or_b32 v7, v6, 12, v0
	v_cmp_gt_i32_e32 vcc, 1, v6
	v_cndmask_b32_e32 v5, v7, v5, vcc
	v_and_b32_e32 v7, 7, v5
	v_cmp_lt_i32_e32 vcc, 5, v7
	v_cmp_eq_u32_e64 s[0:1], 3, v7
	v_lshrrev_b32_e32 v7, 2, v5
	v_cvt_f64_f32_e32 v[4:5], v4
	s_or_b64 vcc, s[0:1], vcc
	v_addc_co_u32_e32 v7, vcc, 0, v7, vcc
	v_mul_f64 v[4:5], v[4:5], s[2:3]
	v_cmp_gt_i32_e32 vcc, 31, v6
	v_cndmask_b32_e32 v7, v15, v7, vcc
	v_cmp_ne_u32_e32 vcc, 0, v0
	v_cndmask_b32_e64 v0, 0, 1, vcc
	v_lshl_or_b32 v0, v0, 9, v15
	v_cmp_eq_u32_e32 vcc, s10, v6
	v_cndmask_b32_e32 v0, v7, v0, vcc
	v_lshrrev_b32_e32 v1, 16, v1
	v_and_or_b32 v6, v1, s11, v0
	v_and_or_b32 v0, v5, s6, v4
	v_cmp_ne_u32_e32 vcc, 0, v0
	v_cndmask_b32_e64 v0, 0, 1, vcc
	v_lshrrev_b32_e32 v1, 8, v5
	v_bfe_u32 v4, v5, 20, 11
	v_and_or_b32 v0, v1, s7, v0
	v_sub_u32_e32 v7, 0x3f1, v4
	v_or_b32_e32 v1, 0x1000, v0
	v_med3_i32 v7, v7, 0, 13
	v_lshrrev_b32_e32 v8, v7, v1
	v_lshlrev_b32_e32 v7, v7, v8
	v_cmp_ne_u32_e32 vcc, v7, v1
	v_cndmask_b32_e64 v1, 0, 1, vcc
	v_add_u32_e32 v4, 0xfffffc10, v4
	v_or_b32_e32 v1, v8, v1
	v_lshl_or_b32 v7, v4, 12, v0
	v_cmp_gt_i32_e32 vcc, 1, v4
	v_cndmask_b32_e32 v1, v7, v1, vcc
	v_and_b32_e32 v7, 7, v1
	v_cmp_lt_i32_e32 vcc, 5, v7
	v_cmp_eq_u32_e64 s[0:1], 3, v7
	v_lshrrev_b32_e32 v7, 16, v14
	v_lshrrev_b32_e32 v1, 2, v1
	s_or_b64 vcc, s[0:1], vcc
	v_mul_f16_sdwa v8, v84, v7 dst_sel:DWORD dst_unused:UNUSED_PAD src0_sel:WORD_1 src1_sel:DWORD
	v_addc_co_u32_e32 v1, vcc, 0, v1, vcc
	v_fma_f16 v8, v84, v14, v8
	v_cmp_gt_i32_e32 vcc, 31, v4
	v_cvt_f32_f16_e32 v8, v8
	v_cndmask_b32_e32 v1, v15, v1, vcc
	v_cmp_ne_u32_e32 vcc, 0, v0
	v_cndmask_b32_e64 v0, 0, 1, vcc
	v_lshl_or_b32 v0, v0, 9, v15
	v_cmp_eq_u32_e32 vcc, s10, v4
	v_cndmask_b32_e32 v4, v1, v0, vcc
	v_cvt_f64_f32_e32 v[0:1], v8
	v_lshrrev_b32_e32 v5, 16, v5
	v_and_or_b32 v4, v5, s11, v4
	v_and_b32_e32 v5, 0xffff, v6
	v_mul_f64 v[0:1], v[0:1], s[2:3]
	v_lshl_or_b32 v4, v4, 16, v5
	v_mov_b32_e32 v5, s4
	v_add_co_u32_e32 v2, vcc, s5, v2
	v_addc_co_u32_e32 v3, vcc, v3, v5, vcc
	global_store_dword v[2:3], v4, off
	v_and_or_b32 v0, v1, s6, v0
	v_cmp_ne_u32_e32 vcc, 0, v0
	v_cndmask_b32_e64 v0, 0, 1, vcc
	v_lshrrev_b32_e32 v4, 8, v1
	v_bfe_u32 v5, v1, 20, 11
	v_and_or_b32 v0, v4, s7, v0
	v_sub_u32_e32 v6, 0x3f1, v5
	v_or_b32_e32 v4, 0x1000, v0
	v_med3_i32 v6, v6, 0, 13
	v_lshrrev_b32_e32 v8, v6, v4
	v_lshlrev_b32_e32 v6, v6, v8
	v_cmp_ne_u32_e32 vcc, v6, v4
	v_cndmask_b32_e64 v4, 0, 1, vcc
	v_or_b32_e32 v4, v8, v4
	v_mul_f16_sdwa v8, v84, v14 dst_sel:DWORD dst_unused:UNUSED_PAD src0_sel:WORD_1 src1_sel:DWORD
	v_fma_f16 v7, v84, v7, -v8
	v_add_u32_e32 v6, 0xfffffc10, v5
	v_cvt_f32_f16_e32 v7, v7
	v_lshl_or_b32 v5, v6, 12, v0
	v_cmp_gt_i32_e32 vcc, 1, v6
	v_cndmask_b32_e32 v4, v5, v4, vcc
	v_and_b32_e32 v5, 7, v4
	v_cmp_lt_i32_e32 vcc, 5, v5
	v_cmp_eq_u32_e64 s[0:1], 3, v5
	v_lshrrev_b32_e32 v8, 2, v4
	v_cvt_f64_f32_e32 v[4:5], v7
	s_or_b64 vcc, s[0:1], vcc
	v_addc_co_u32_e32 v7, vcc, 0, v8, vcc
	v_mul_f64 v[4:5], v[4:5], s[2:3]
	v_cmp_gt_i32_e32 vcc, 31, v6
	v_cndmask_b32_e32 v7, v15, v7, vcc
	v_cmp_ne_u32_e32 vcc, 0, v0
	v_cndmask_b32_e64 v0, 0, 1, vcc
	v_lshl_or_b32 v0, v0, 9, v15
	v_cmp_eq_u32_e32 vcc, s10, v6
	v_cndmask_b32_e32 v0, v7, v0, vcc
	v_lshrrev_b32_e32 v1, 16, v1
	v_and_or_b32 v0, v1, s11, v0
	v_and_or_b32 v1, v5, s6, v4
	v_cmp_ne_u32_e32 vcc, 0, v1
	v_cndmask_b32_e64 v1, 0, 1, vcc
	v_lshrrev_b32_e32 v4, 8, v5
	v_bfe_u32 v6, v5, 20, 11
	v_and_or_b32 v1, v4, s7, v1
	v_sub_u32_e32 v7, 0x3f1, v6
	v_or_b32_e32 v4, 0x1000, v1
	v_med3_i32 v7, v7, 0, 13
	v_lshrrev_b32_e32 v8, v7, v4
	v_lshlrev_b32_e32 v7, v7, v8
	v_cmp_ne_u32_e32 vcc, v7, v4
	v_cndmask_b32_e64 v4, 0, 1, vcc
	v_add_u32_e32 v6, 0xfffffc10, v6
	v_or_b32_e32 v4, v8, v4
	v_lshl_or_b32 v7, v6, 12, v1
	v_cmp_gt_i32_e32 vcc, 1, v6
	v_cndmask_b32_e32 v4, v7, v4, vcc
	v_and_b32_e32 v7, 7, v4
	v_cmp_lt_i32_e32 vcc, 5, v7
	v_cmp_eq_u32_e64 s[0:1], 3, v7
	v_lshrrev_b32_e32 v4, 2, v4
	s_or_b64 vcc, s[0:1], vcc
	v_addc_co_u32_e32 v4, vcc, 0, v4, vcc
	v_cmp_gt_i32_e32 vcc, 31, v6
	v_cndmask_b32_e32 v4, v15, v4, vcc
	v_cmp_ne_u32_e32 vcc, 0, v1
	v_cndmask_b32_e64 v1, 0, 1, vcc
	v_lshl_or_b32 v1, v1, 9, v15
	v_cmp_eq_u32_e32 vcc, s10, v6
	v_cndmask_b32_e32 v1, v4, v1, vcc
	v_lshrrev_b32_e32 v4, 16, v5
	v_and_or_b32 v1, v4, s11, v1
	v_and_b32_e32 v0, 0xffff, v0
	v_lshl_or_b32 v4, v1, 16, v0
	v_mov_b32_e32 v1, s4
	v_add_co_u32_e32 v0, vcc, s5, v2
	v_addc_co_u32_e32 v1, vcc, v3, v1, vcc
	global_store_dword v[0:1], v4, off
.LBB0_2:
	s_endpgm
	.section	.rodata,"a",@progbits
	.p2align	6, 0x0
	.amdhsa_kernel bluestein_single_back_len3000_dim1_half_op_CI_CI
		.amdhsa_group_segment_fixed_size 12000
		.amdhsa_private_segment_fixed_size 0
		.amdhsa_kernarg_size 104
		.amdhsa_user_sgpr_count 6
		.amdhsa_user_sgpr_private_segment_buffer 1
		.amdhsa_user_sgpr_dispatch_ptr 0
		.amdhsa_user_sgpr_queue_ptr 0
		.amdhsa_user_sgpr_kernarg_segment_ptr 1
		.amdhsa_user_sgpr_dispatch_id 0
		.amdhsa_user_sgpr_flat_scratch_init 0
		.amdhsa_user_sgpr_private_segment_size 0
		.amdhsa_uses_dynamic_stack 0
		.amdhsa_system_sgpr_private_segment_wavefront_offset 0
		.amdhsa_system_sgpr_workgroup_id_x 1
		.amdhsa_system_sgpr_workgroup_id_y 0
		.amdhsa_system_sgpr_workgroup_id_z 0
		.amdhsa_system_sgpr_workgroup_info 0
		.amdhsa_system_vgpr_workitem_id 0
		.amdhsa_next_free_vgpr 237
		.amdhsa_next_free_sgpr 20
		.amdhsa_reserve_vcc 1
		.amdhsa_reserve_flat_scratch 0
		.amdhsa_float_round_mode_32 0
		.amdhsa_float_round_mode_16_64 0
		.amdhsa_float_denorm_mode_32 3
		.amdhsa_float_denorm_mode_16_64 3
		.amdhsa_dx10_clamp 1
		.amdhsa_ieee_mode 1
		.amdhsa_fp16_overflow 0
		.amdhsa_exception_fp_ieee_invalid_op 0
		.amdhsa_exception_fp_denorm_src 0
		.amdhsa_exception_fp_ieee_div_zero 0
		.amdhsa_exception_fp_ieee_overflow 0
		.amdhsa_exception_fp_ieee_underflow 0
		.amdhsa_exception_fp_ieee_inexact 0
		.amdhsa_exception_int_div_zero 0
	.end_amdhsa_kernel
	.text
.Lfunc_end0:
	.size	bluestein_single_back_len3000_dim1_half_op_CI_CI, .Lfunc_end0-bluestein_single_back_len3000_dim1_half_op_CI_CI
                                        ; -- End function
	.section	.AMDGPU.csdata,"",@progbits
; Kernel info:
; codeLenInByte = 48384
; NumSgprs: 24
; NumVgprs: 237
; ScratchSize: 0
; MemoryBound: 0
; FloatMode: 240
; IeeeMode: 1
; LDSByteSize: 12000 bytes/workgroup (compile time only)
; SGPRBlocks: 2
; VGPRBlocks: 59
; NumSGPRsForWavesPerEU: 24
; NumVGPRsForWavesPerEU: 237
; Occupancy: 1
; WaveLimiterHint : 1
; COMPUTE_PGM_RSRC2:SCRATCH_EN: 0
; COMPUTE_PGM_RSRC2:USER_SGPR: 6
; COMPUTE_PGM_RSRC2:TRAP_HANDLER: 0
; COMPUTE_PGM_RSRC2:TGID_X_EN: 1
; COMPUTE_PGM_RSRC2:TGID_Y_EN: 0
; COMPUTE_PGM_RSRC2:TGID_Z_EN: 0
; COMPUTE_PGM_RSRC2:TIDIG_COMP_CNT: 0
	.type	__hip_cuid_2a5705d8f95b96b8,@object ; @__hip_cuid_2a5705d8f95b96b8
	.section	.bss,"aw",@nobits
	.globl	__hip_cuid_2a5705d8f95b96b8
__hip_cuid_2a5705d8f95b96b8:
	.byte	0                               ; 0x0
	.size	__hip_cuid_2a5705d8f95b96b8, 1

	.ident	"AMD clang version 19.0.0git (https://github.com/RadeonOpenCompute/llvm-project roc-6.4.0 25133 c7fe45cf4b819c5991fe208aaa96edf142730f1d)"
	.section	".note.GNU-stack","",@progbits
	.addrsig
	.addrsig_sym __hip_cuid_2a5705d8f95b96b8
	.amdgpu_metadata
---
amdhsa.kernels:
  - .args:
      - .actual_access:  read_only
        .address_space:  global
        .offset:         0
        .size:           8
        .value_kind:     global_buffer
      - .actual_access:  read_only
        .address_space:  global
        .offset:         8
        .size:           8
        .value_kind:     global_buffer
      - .actual_access:  read_only
        .address_space:  global
        .offset:         16
        .size:           8
        .value_kind:     global_buffer
      - .actual_access:  read_only
        .address_space:  global
        .offset:         24
        .size:           8
        .value_kind:     global_buffer
      - .actual_access:  read_only
        .address_space:  global
        .offset:         32
        .size:           8
        .value_kind:     global_buffer
      - .offset:         40
        .size:           8
        .value_kind:     by_value
      - .address_space:  global
        .offset:         48
        .size:           8
        .value_kind:     global_buffer
      - .address_space:  global
        .offset:         56
        .size:           8
        .value_kind:     global_buffer
      - .address_space:  global
        .offset:         64
        .size:           8
        .value_kind:     global_buffer
      - .address_space:  global
        .offset:         72
        .size:           8
        .value_kind:     global_buffer
      - .offset:         80
        .size:           4
        .value_kind:     by_value
      - .address_space:  global
        .offset:         88
        .size:           8
        .value_kind:     global_buffer
      - .address_space:  global
        .offset:         96
        .size:           8
        .value_kind:     global_buffer
    .group_segment_fixed_size: 12000
    .kernarg_segment_align: 8
    .kernarg_segment_size: 104
    .language:       OpenCL C
    .language_version:
      - 2
      - 0
    .max_flat_workgroup_size: 100
    .name:           bluestein_single_back_len3000_dim1_half_op_CI_CI
    .private_segment_fixed_size: 0
    .sgpr_count:     24
    .sgpr_spill_count: 0
    .symbol:         bluestein_single_back_len3000_dim1_half_op_CI_CI.kd
    .uniform_work_group_size: 1
    .uses_dynamic_stack: false
    .vgpr_count:     237
    .vgpr_spill_count: 0
    .wavefront_size: 64
amdhsa.target:   amdgcn-amd-amdhsa--gfx906
amdhsa.version:
  - 1
  - 2
...

	.end_amdgpu_metadata
